;; amdgpu-corpus repo=ROCm/rocFFT kind=compiled arch=gfx1030 opt=O3
	.text
	.amdgcn_target "amdgcn-amd-amdhsa--gfx1030"
	.amdhsa_code_object_version 6
	.protected	fft_rtc_back_len1248_factors_2_2_13_2_3_2_2_wgs_52_tpt_52_halfLds_dp_ip_CI_unitstride_sbrr_C2R_dirReg ; -- Begin function fft_rtc_back_len1248_factors_2_2_13_2_3_2_2_wgs_52_tpt_52_halfLds_dp_ip_CI_unitstride_sbrr_C2R_dirReg
	.globl	fft_rtc_back_len1248_factors_2_2_13_2_3_2_2_wgs_52_tpt_52_halfLds_dp_ip_CI_unitstride_sbrr_C2R_dirReg
	.p2align	8
	.type	fft_rtc_back_len1248_factors_2_2_13_2_3_2_2_wgs_52_tpt_52_halfLds_dp_ip_CI_unitstride_sbrr_C2R_dirReg,@function
fft_rtc_back_len1248_factors_2_2_13_2_3_2_2_wgs_52_tpt_52_halfLds_dp_ip_CI_unitstride_sbrr_C2R_dirReg: ; @fft_rtc_back_len1248_factors_2_2_13_2_3_2_2_wgs_52_tpt_52_halfLds_dp_ip_CI_unitstride_sbrr_C2R_dirReg
; %bb.0:
	s_clause 0x2
	s_load_dwordx4 s[8:11], s[4:5], 0x0
	s_load_dwordx2 s[2:3], s[4:5], 0x50
	s_load_dwordx2 s[12:13], s[4:5], 0x18
	v_mul_u32_u24_e32 v1, 0x4ed, v0
	v_mov_b32_e32 v3, 0
	v_add_nc_u32_sdwa v5, s6, v1 dst_sel:DWORD dst_unused:UNUSED_PAD src0_sel:DWORD src1_sel:WORD_1
	v_mov_b32_e32 v1, 0
	v_mov_b32_e32 v6, v3
	v_mov_b32_e32 v2, 0
	s_waitcnt lgkmcnt(0)
	v_cmp_lt_u64_e64 s0, s[10:11], 2
	s_and_b32 vcc_lo, exec_lo, s0
	s_cbranch_vccnz .LBB0_8
; %bb.1:
	s_load_dwordx2 s[0:1], s[4:5], 0x10
	v_mov_b32_e32 v1, 0
	s_add_u32 s6, s12, 8
	v_mov_b32_e32 v2, 0
	s_addc_u32 s7, s13, 0
	s_mov_b64 s[16:17], 1
	s_waitcnt lgkmcnt(0)
	s_add_u32 s14, s0, 8
	s_addc_u32 s15, s1, 0
.LBB0_2:                                ; =>This Inner Loop Header: Depth=1
	s_load_dwordx2 s[18:19], s[14:15], 0x0
                                        ; implicit-def: $vgpr7_vgpr8
	s_mov_b32 s0, exec_lo
	s_waitcnt lgkmcnt(0)
	v_or_b32_e32 v4, s19, v6
	v_cmpx_ne_u64_e32 0, v[3:4]
	s_xor_b32 s1, exec_lo, s0
	s_cbranch_execz .LBB0_4
; %bb.3:                                ;   in Loop: Header=BB0_2 Depth=1
	v_cvt_f32_u32_e32 v4, s18
	v_cvt_f32_u32_e32 v7, s19
	s_sub_u32 s0, 0, s18
	s_subb_u32 s20, 0, s19
	v_fmac_f32_e32 v4, 0x4f800000, v7
	v_rcp_f32_e32 v4, v4
	v_mul_f32_e32 v4, 0x5f7ffffc, v4
	v_mul_f32_e32 v7, 0x2f800000, v4
	v_trunc_f32_e32 v7, v7
	v_fmac_f32_e32 v4, 0xcf800000, v7
	v_cvt_u32_f32_e32 v7, v7
	v_cvt_u32_f32_e32 v4, v4
	v_mul_lo_u32 v8, s0, v7
	v_mul_hi_u32 v9, s0, v4
	v_mul_lo_u32 v10, s20, v4
	v_add_nc_u32_e32 v8, v9, v8
	v_mul_lo_u32 v9, s0, v4
	v_add_nc_u32_e32 v8, v8, v10
	v_mul_hi_u32 v10, v4, v9
	v_mul_lo_u32 v11, v4, v8
	v_mul_hi_u32 v12, v4, v8
	v_mul_hi_u32 v13, v7, v9
	v_mul_lo_u32 v9, v7, v9
	v_mul_hi_u32 v14, v7, v8
	v_mul_lo_u32 v8, v7, v8
	v_add_co_u32 v10, vcc_lo, v10, v11
	v_add_co_ci_u32_e32 v11, vcc_lo, 0, v12, vcc_lo
	v_add_co_u32 v9, vcc_lo, v10, v9
	v_add_co_ci_u32_e32 v9, vcc_lo, v11, v13, vcc_lo
	v_add_co_ci_u32_e32 v10, vcc_lo, 0, v14, vcc_lo
	v_add_co_u32 v8, vcc_lo, v9, v8
	v_add_co_ci_u32_e32 v9, vcc_lo, 0, v10, vcc_lo
	v_add_co_u32 v4, vcc_lo, v4, v8
	v_add_co_ci_u32_e32 v7, vcc_lo, v7, v9, vcc_lo
	v_mul_hi_u32 v8, s0, v4
	v_mul_lo_u32 v10, s20, v4
	v_mul_lo_u32 v9, s0, v7
	v_add_nc_u32_e32 v8, v8, v9
	v_mul_lo_u32 v9, s0, v4
	v_add_nc_u32_e32 v8, v8, v10
	v_mul_hi_u32 v10, v4, v9
	v_mul_lo_u32 v11, v4, v8
	v_mul_hi_u32 v12, v4, v8
	v_mul_hi_u32 v13, v7, v9
	v_mul_lo_u32 v9, v7, v9
	v_mul_hi_u32 v14, v7, v8
	v_mul_lo_u32 v8, v7, v8
	v_add_co_u32 v10, vcc_lo, v10, v11
	v_add_co_ci_u32_e32 v11, vcc_lo, 0, v12, vcc_lo
	v_add_co_u32 v9, vcc_lo, v10, v9
	v_add_co_ci_u32_e32 v9, vcc_lo, v11, v13, vcc_lo
	v_add_co_ci_u32_e32 v10, vcc_lo, 0, v14, vcc_lo
	v_add_co_u32 v8, vcc_lo, v9, v8
	v_add_co_ci_u32_e32 v9, vcc_lo, 0, v10, vcc_lo
	v_add_co_u32 v4, vcc_lo, v4, v8
	v_add_co_ci_u32_e32 v11, vcc_lo, v7, v9, vcc_lo
	v_mul_hi_u32 v13, v5, v4
	v_mad_u64_u32 v[9:10], null, v6, v4, 0
	v_mad_u64_u32 v[7:8], null, v5, v11, 0
	;; [unrolled: 1-line block ×3, first 2 shown]
	v_add_co_u32 v4, vcc_lo, v13, v7
	v_add_co_ci_u32_e32 v7, vcc_lo, 0, v8, vcc_lo
	v_add_co_u32 v4, vcc_lo, v4, v9
	v_add_co_ci_u32_e32 v4, vcc_lo, v7, v10, vcc_lo
	v_add_co_ci_u32_e32 v7, vcc_lo, 0, v12, vcc_lo
	v_add_co_u32 v4, vcc_lo, v4, v11
	v_add_co_ci_u32_e32 v9, vcc_lo, 0, v7, vcc_lo
	v_mul_lo_u32 v10, s19, v4
	v_mad_u64_u32 v[7:8], null, s18, v4, 0
	v_mul_lo_u32 v11, s18, v9
	v_sub_co_u32 v7, vcc_lo, v5, v7
	v_add3_u32 v8, v8, v11, v10
	v_sub_nc_u32_e32 v10, v6, v8
	v_subrev_co_ci_u32_e64 v10, s0, s19, v10, vcc_lo
	v_add_co_u32 v11, s0, v4, 2
	v_add_co_ci_u32_e64 v12, s0, 0, v9, s0
	v_sub_co_u32 v13, s0, v7, s18
	v_sub_co_ci_u32_e32 v8, vcc_lo, v6, v8, vcc_lo
	v_subrev_co_ci_u32_e64 v10, s0, 0, v10, s0
	v_cmp_le_u32_e32 vcc_lo, s18, v13
	v_cmp_eq_u32_e64 s0, s19, v8
	v_cndmask_b32_e64 v13, 0, -1, vcc_lo
	v_cmp_le_u32_e32 vcc_lo, s19, v10
	v_cndmask_b32_e64 v14, 0, -1, vcc_lo
	v_cmp_le_u32_e32 vcc_lo, s18, v7
	;; [unrolled: 2-line block ×3, first 2 shown]
	v_cndmask_b32_e64 v15, 0, -1, vcc_lo
	v_cmp_eq_u32_e32 vcc_lo, s19, v10
	v_cndmask_b32_e64 v7, v15, v7, s0
	v_cndmask_b32_e32 v10, v14, v13, vcc_lo
	v_add_co_u32 v13, vcc_lo, v4, 1
	v_add_co_ci_u32_e32 v14, vcc_lo, 0, v9, vcc_lo
	v_cmp_ne_u32_e32 vcc_lo, 0, v10
	v_cndmask_b32_e32 v8, v14, v12, vcc_lo
	v_cndmask_b32_e32 v10, v13, v11, vcc_lo
	v_cmp_ne_u32_e32 vcc_lo, 0, v7
	v_cndmask_b32_e32 v8, v9, v8, vcc_lo
	v_cndmask_b32_e32 v7, v4, v10, vcc_lo
.LBB0_4:                                ;   in Loop: Header=BB0_2 Depth=1
	s_andn2_saveexec_b32 s0, s1
	s_cbranch_execz .LBB0_6
; %bb.5:                                ;   in Loop: Header=BB0_2 Depth=1
	v_cvt_f32_u32_e32 v4, s18
	s_sub_i32 s1, 0, s18
	v_rcp_iflag_f32_e32 v4, v4
	v_mul_f32_e32 v4, 0x4f7ffffe, v4
	v_cvt_u32_f32_e32 v4, v4
	v_mul_lo_u32 v7, s1, v4
	v_mul_hi_u32 v7, v4, v7
	v_add_nc_u32_e32 v4, v4, v7
	v_mul_hi_u32 v4, v5, v4
	v_mul_lo_u32 v7, v4, s18
	v_add_nc_u32_e32 v8, 1, v4
	v_sub_nc_u32_e32 v7, v5, v7
	v_subrev_nc_u32_e32 v9, s18, v7
	v_cmp_le_u32_e32 vcc_lo, s18, v7
	v_cndmask_b32_e32 v7, v7, v9, vcc_lo
	v_cndmask_b32_e32 v4, v4, v8, vcc_lo
	v_cmp_le_u32_e32 vcc_lo, s18, v7
	v_add_nc_u32_e32 v8, 1, v4
	v_cndmask_b32_e32 v7, v4, v8, vcc_lo
	v_mov_b32_e32 v8, v3
.LBB0_6:                                ;   in Loop: Header=BB0_2 Depth=1
	s_or_b32 exec_lo, exec_lo, s0
	s_load_dwordx2 s[0:1], s[6:7], 0x0
	v_mul_lo_u32 v4, v8, s18
	v_mul_lo_u32 v11, v7, s19
	v_mad_u64_u32 v[9:10], null, v7, s18, 0
	s_add_u32 s16, s16, 1
	s_addc_u32 s17, s17, 0
	s_add_u32 s6, s6, 8
	s_addc_u32 s7, s7, 0
	;; [unrolled: 2-line block ×3, first 2 shown]
	v_add3_u32 v4, v10, v11, v4
	v_sub_co_u32 v5, vcc_lo, v5, v9
	v_sub_co_ci_u32_e32 v4, vcc_lo, v6, v4, vcc_lo
	s_waitcnt lgkmcnt(0)
	v_mul_lo_u32 v6, s1, v5
	v_mul_lo_u32 v4, s0, v4
	v_mad_u64_u32 v[1:2], null, s0, v5, v[1:2]
	v_cmp_ge_u64_e64 s0, s[16:17], s[10:11]
	s_and_b32 vcc_lo, exec_lo, s0
	v_add3_u32 v2, v6, v2, v4
	s_cbranch_vccnz .LBB0_9
; %bb.7:                                ;   in Loop: Header=BB0_2 Depth=1
	v_mov_b32_e32 v5, v7
	v_mov_b32_e32 v6, v8
	s_branch .LBB0_2
.LBB0_8:
	v_mov_b32_e32 v8, v6
	v_mov_b32_e32 v7, v5
.LBB0_9:
	s_lshl_b64 s[0:1], s[10:11], 3
	v_mul_hi_u32 v3, 0x4ec4ec5, v0
	s_add_u32 s0, s12, s0
	s_addc_u32 s1, s13, s1
	s_load_dwordx2 s[0:1], s[0:1], 0x0
	s_load_dwordx2 s[4:5], s[4:5], 0x20
	v_mul_u32_u24_e32 v3, 52, v3
	s_waitcnt lgkmcnt(0)
	v_mul_lo_u32 v4, s0, v8
	v_mul_lo_u32 v5, s1, v7
	v_mad_u64_u32 v[1:2], null, s0, v7, v[1:2]
	v_cmp_gt_u64_e32 vcc_lo, s[4:5], v[7:8]
	v_add3_u32 v2, v5, v2, v4
	v_sub_nc_u32_e32 v4, v0, v3
	v_mov_b32_e32 v5, 0
	v_lshlrev_b64 v[138:139], 4, v[1:2]
	v_mov_b32_e32 v136, v4
	s_and_saveexec_b32 s1, vcc_lo
	s_cbranch_execz .LBB0_13
; %bb.10:
	v_lshlrev_b64 v[0:1], 4, v[4:5]
	v_add_co_u32 v2, s0, s2, v138
	v_add_co_ci_u32_e64 v3, s0, s3, v139, s0
	v_or_b32_e32 v46, 0x340, v4
	v_add_co_u32 v0, s0, v2, v0
	v_add_co_ci_u32_e64 v1, s0, v3, v1, s0
	v_mov_b32_e32 v47, v5
	v_add_co_u32 v22, s0, 0x800, v0
	v_add_co_ci_u32_e64 v23, s0, 0, v1, s0
	v_add_co_u32 v34, s0, 0x1000, v0
	v_add_co_ci_u32_e64 v35, s0, 0, v1, s0
	v_add_co_u32 v42, s0, 0x1800, v0
	v_add_co_ci_u32_e64 v43, s0, 0, v1, s0
	v_add_co_u32 v54, s0, 0x2000, v0
	v_add_co_ci_u32_e64 v55, s0, 0, v1, s0
	v_lshlrev_b64 v[46:47], 4, v[46:47]
	v_add_co_u32 v62, s0, 0x2800, v0
	v_add_co_ci_u32_e64 v63, s0, 0, v1, s0
	v_add_co_u32 v74, s0, 0x3000, v0
	v_add_co_ci_u32_e64 v75, s0, 0, v1, s0
	;; [unrolled: 2-line block ×5, first 2 shown]
	s_clause 0x5
	global_load_dwordx4 v[6:9], v[0:1], off
	global_load_dwordx4 v[10:13], v[0:1], off offset:832
	global_load_dwordx4 v[14:17], v[0:1], off offset:1664
	;; [unrolled: 1-line block ×5, first 2 shown]
	v_add_co_u32 v0, s0, 0x4800, v0
	s_clause 0x3
	global_load_dwordx4 v[30:33], v[34:35], off offset:896
	global_load_dwordx4 v[34:37], v[34:35], off offset:1728
	global_load_dwordx4 v[38:41], v[42:43], off offset:512
	global_load_dwordx4 v[42:45], v[42:43], off offset:1344
	v_add_co_ci_u32_e64 v1, s0, 0, v1, s0
	s_clause 0xd
	global_load_dwordx4 v[46:49], v[54:55], off offset:128
	global_load_dwordx4 v[50:53], v[54:55], off offset:960
	;; [unrolled: 1-line block ×6, first 2 shown]
	global_load_dwordx4 v[70:73], v[70:71], off
	global_load_dwordx4 v[74:77], v[74:75], off offset:1856
	global_load_dwordx4 v[78:81], v[82:83], off offset:640
	;; [unrolled: 1-line block ×7, first 2 shown]
	v_mov_b32_e32 v0, v4
	v_lshl_add_u32 v102, v4, 4, 0
	v_cmp_eq_u32_e64 s0, 51, v4
	v_mov_b32_e32 v1, v5
	s_waitcnt vmcnt(23)
	ds_write_b128 v102, v[6:9]
	s_waitcnt vmcnt(22)
	ds_write_b128 v102, v[10:13] offset:832
	s_waitcnt vmcnt(21)
	ds_write_b128 v102, v[14:17] offset:1664
	;; [unrolled: 2-line block ×23, first 2 shown]
	s_and_saveexec_b32 s4, s0
	s_cbranch_execz .LBB0_12
; %bb.11:
	v_add_co_u32 v0, s0, 0x4800, v2
	v_add_co_ci_u32_e64 v1, s0, 0, v3, s0
	v_mov_b32_e32 v2, 0
	v_mov_b32_e32 v4, 51
	global_load_dwordx4 v[5:8], v[0:1], off offset:1536
	v_mov_b32_e32 v0, 51
	v_mov_b32_e32 v1, 0
	s_waitcnt vmcnt(0)
	ds_write_b128 v2, v[5:8] offset:19968
.LBB0_12:
	s_or_b32 exec_lo, exec_lo, s4
	v_mov_b32_e32 v136, v4
	v_mov_b32_e32 v5, v1
	;; [unrolled: 1-line block ×3, first 2 shown]
.LBB0_13:
	s_or_b32 exec_lo, exec_lo, s1
	v_lshlrev_b32_e32 v0, 4, v136
	s_waitcnt lgkmcnt(0)
	s_barrier
	buffer_gl0_inv
	v_lshlrev_b64 v[144:145], 4, v[4:5]
	v_add_nc_u32_e32 v179, 0, v0
	v_sub_nc_u32_e32 v12, 0, v0
	s_add_u32 s1, s8, 0x4de0
	s_addc_u32 s4, s9, 0
	s_mov_b32 s5, exec_lo
	ds_read_b64 v[6:7], v179
	ds_read_b64 v[8:9], v12 offset:19968
	s_waitcnt lgkmcnt(0)
	v_add_f64 v[0:1], v[6:7], v[8:9]
	v_add_f64 v[2:3], v[6:7], -v[8:9]
	v_cmpx_ne_u32_e32 0, v136
	s_xor_b32 s5, exec_lo, s5
	s_cbranch_execz .LBB0_15
; %bb.14:
	v_add_co_u32 v0, s0, s1, v144
	v_add_co_ci_u32_e64 v1, s0, s4, v145, s0
	v_add_f64 v[13:14], v[6:7], v[8:9]
	v_add_f64 v[8:9], v[6:7], -v[8:9]
	global_load_dwordx4 v[2:5], v[0:1], off
	ds_read_b64 v[0:1], v12 offset:19976
	ds_read_b64 v[10:11], v179 offset:8
	s_waitcnt lgkmcnt(0)
	v_add_f64 v[6:7], v[0:1], v[10:11]
	v_add_f64 v[0:1], v[10:11], -v[0:1]
	s_waitcnt vmcnt(0)
	v_fma_f64 v[10:11], v[8:9], v[4:5], v[13:14]
	v_fma_f64 v[13:14], -v[8:9], v[4:5], v[13:14]
	v_fma_f64 v[15:16], v[6:7], v[4:5], -v[0:1]
	v_fma_f64 v[17:18], v[6:7], v[4:5], v[0:1]
	v_fma_f64 v[0:1], -v[6:7], v[2:3], v[10:11]
	v_fma_f64 v[4:5], v[6:7], v[2:3], v[13:14]
	v_fma_f64 v[6:7], v[8:9], v[2:3], v[15:16]
	;; [unrolled: 1-line block ×3, first 2 shown]
	ds_write_b128 v12, v[4:7] offset:19968
.LBB0_15:
	s_andn2_saveexec_b32 s0, s5
	s_cbranch_execz .LBB0_17
; %bb.16:
	v_mov_b32_e32 v8, 0
	ds_read_b128 v[4:7], v8 offset:9984
	s_waitcnt lgkmcnt(0)
	v_add_f64 v[4:5], v[4:5], v[4:5]
	v_mul_f64 v[6:7], v[6:7], -2.0
	ds_write_b128 v8, v[4:7] offset:9984
.LBB0_17:
	s_or_b32 exec_lo, exec_lo, s0
	v_mov_b32_e32 v137, 0
	v_add_nc_u32_e32 v188, 52, v136
	v_add_nc_u32_e32 v141, 0x68, v136
	;; [unrolled: 1-line block ×4, first 2 shown]
	v_lshlrev_b64 v[142:143], 4, v[136:137]
	v_add_nc_u32_e32 v137, 0xd0, v136
	v_add_nc_u32_e32 v181, 0x138, v136
	;; [unrolled: 1-line block ×5, first 2 shown]
	v_add_co_u32 v4, s0, s1, v142
	v_add_co_ci_u32_e64 v5, s0, s4, v143, s0
	v_add_nc_u32_e32 v186, 0x208, v136
	v_add_co_u32 v10, s0, 0x800, v4
	s_clause 0x1
	global_load_dwordx4 v[6:9], v[4:5], off offset:832
	global_load_dwordx4 v[13:16], v[4:5], off offset:1664
	v_add_co_ci_u32_e64 v11, s0, 0, v5, s0
	ds_write_b128 v179, v[0:3]
	v_add_nc_u32_e32 v187, 0x23c, v136
	v_lshl_add_u32 v101, v137, 5, 0
	global_load_dwordx4 v[17:20], v[10:11], off offset:448
	ds_read_b128 v[0:3], v179 offset:832
	ds_read_b128 v[21:24], v12 offset:19136
	global_load_dwordx4 v[25:28], v[10:11], off offset:1280
	v_lshl_add_u32 v102, v180, 5, 0
	v_lshl_add_u32 v103, v181, 5, 0
	;; [unrolled: 1-line block ×7, first 2 shown]
	v_lshlrev_b32_e32 v140, 1, v136
	v_lshlrev_b32_e32 v146, 1, v188
	s_waitcnt lgkmcnt(0)
	v_add_f64 v[10:11], v[0:1], v[21:22]
	v_add_f64 v[29:30], v[23:24], v[2:3]
	v_add_f64 v[21:22], v[0:1], -v[21:22]
	v_add_f64 v[0:1], v[2:3], -v[23:24]
	s_waitcnt vmcnt(3)
	v_fma_f64 v[2:3], v[21:22], v[8:9], v[10:11]
	v_fma_f64 v[23:24], v[29:30], v[8:9], v[0:1]
	v_fma_f64 v[10:11], -v[21:22], v[8:9], v[10:11]
	v_fma_f64 v[31:32], v[29:30], v[8:9], -v[0:1]
	v_fma_f64 v[0:1], -v[29:30], v[6:7], v[2:3]
	v_fma_f64 v[2:3], v[21:22], v[6:7], v[23:24]
	v_fma_f64 v[8:9], v[29:30], v[6:7], v[10:11]
	;; [unrolled: 1-line block ×3, first 2 shown]
	v_add_co_u32 v29, s0, 0x1000, v4
	v_add_co_ci_u32_e64 v30, s0, 0, v5, s0
	ds_write_b128 v179, v[0:3] offset:832
	ds_write_b128 v12, v[8:11] offset:19136
	ds_read_b128 v[0:3], v179 offset:1664
	ds_read_b128 v[6:9], v12 offset:18304
	global_load_dwordx4 v[21:24], v[29:30], off offset:64
	s_waitcnt lgkmcnt(0)
	v_add_f64 v[10:11], v[0:1], v[6:7]
	v_add_f64 v[31:32], v[8:9], v[2:3]
	v_add_f64 v[33:34], v[0:1], -v[6:7]
	v_add_f64 v[0:1], v[2:3], -v[8:9]
	s_waitcnt vmcnt(3)
	v_fma_f64 v[2:3], v[33:34], v[15:16], v[10:11]
	v_fma_f64 v[6:7], v[31:32], v[15:16], v[0:1]
	v_fma_f64 v[8:9], -v[33:34], v[15:16], v[10:11]
	v_fma_f64 v[10:11], v[31:32], v[15:16], -v[0:1]
	v_fma_f64 v[0:1], -v[31:32], v[13:14], v[2:3]
	v_fma_f64 v[2:3], v[33:34], v[13:14], v[6:7]
	v_fma_f64 v[6:7], v[31:32], v[13:14], v[8:9]
	v_fma_f64 v[8:9], v[33:34], v[13:14], v[10:11]
	ds_write_b128 v179, v[0:3] offset:1664
	ds_write_b128 v12, v[6:9] offset:18304
	ds_read_b128 v[0:3], v179 offset:2496
	ds_read_b128 v[6:9], v12 offset:17472
	global_load_dwordx4 v[13:16], v[29:30], off offset:896
	s_waitcnt lgkmcnt(0)
	v_add_f64 v[10:11], v[0:1], v[6:7]
	v_add_f64 v[31:32], v[8:9], v[2:3]
	v_add_f64 v[33:34], v[0:1], -v[6:7]
	v_add_f64 v[0:1], v[2:3], -v[8:9]
	s_waitcnt vmcnt(3)
	v_fma_f64 v[2:3], v[33:34], v[19:20], v[10:11]
	v_fma_f64 v[6:7], v[31:32], v[19:20], v[0:1]
	v_fma_f64 v[8:9], -v[33:34], v[19:20], v[10:11]
	v_fma_f64 v[10:11], v[31:32], v[19:20], -v[0:1]
	v_fma_f64 v[0:1], -v[31:32], v[17:18], v[2:3]
	v_fma_f64 v[2:3], v[33:34], v[17:18], v[6:7]
	v_fma_f64 v[6:7], v[31:32], v[17:18], v[8:9]
	v_fma_f64 v[8:9], v[33:34], v[17:18], v[10:11]
	;; [unrolled: 19-line block ×3, first 2 shown]
	v_add_co_u32 v10, s0, 0x1800, v4
	v_add_co_ci_u32_e64 v11, s0, 0, v5, s0
	ds_write_b128 v179, v[0:3] offset:3328
	ds_write_b128 v12, v[6:9] offset:16640
	ds_read_b128 v[0:3], v179 offset:4160
	ds_read_b128 v[6:9], v12 offset:15808
	global_load_dwordx4 v[25:28], v[10:11], off offset:512
	s_waitcnt lgkmcnt(0)
	v_add_f64 v[29:30], v[0:1], v[6:7]
	v_add_f64 v[31:32], v[8:9], v[2:3]
	v_add_f64 v[33:34], v[0:1], -v[6:7]
	v_add_f64 v[0:1], v[2:3], -v[8:9]
	s_waitcnt vmcnt(3)
	v_fma_f64 v[2:3], v[33:34], v[23:24], v[29:30]
	v_fma_f64 v[6:7], v[31:32], v[23:24], v[0:1]
	v_fma_f64 v[8:9], -v[33:34], v[23:24], v[29:30]
	v_fma_f64 v[23:24], v[31:32], v[23:24], -v[0:1]
	v_fma_f64 v[0:1], -v[31:32], v[21:22], v[2:3]
	v_fma_f64 v[2:3], v[33:34], v[21:22], v[6:7]
	v_fma_f64 v[6:7], v[31:32], v[21:22], v[8:9]
	;; [unrolled: 1-line block ×3, first 2 shown]
	ds_write_b128 v179, v[0:3] offset:4160
	ds_write_b128 v12, v[6:9] offset:15808
	ds_read_b128 v[0:3], v179 offset:4992
	ds_read_b128 v[6:9], v12 offset:14976
	global_load_dwordx4 v[21:24], v[10:11], off offset:1344
	s_waitcnt lgkmcnt(0)
	v_add_f64 v[10:11], v[0:1], v[6:7]
	v_add_f64 v[29:30], v[8:9], v[2:3]
	v_add_f64 v[31:32], v[0:1], -v[6:7]
	v_add_f64 v[0:1], v[2:3], -v[8:9]
	s_waitcnt vmcnt(3)
	v_fma_f64 v[2:3], v[31:32], v[15:16], v[10:11]
	v_fma_f64 v[6:7], v[29:30], v[15:16], v[0:1]
	v_fma_f64 v[8:9], -v[31:32], v[15:16], v[10:11]
	v_fma_f64 v[10:11], v[29:30], v[15:16], -v[0:1]
	v_fma_f64 v[0:1], -v[29:30], v[13:14], v[2:3]
	v_fma_f64 v[2:3], v[31:32], v[13:14], v[6:7]
	v_fma_f64 v[6:7], v[29:30], v[13:14], v[8:9]
	;; [unrolled: 1-line block ×3, first 2 shown]
	v_add_co_u32 v29, s0, 0x2000, v4
	v_add_co_ci_u32_e64 v30, s0, 0, v5, s0
	v_cmp_gt_u32_e64 s0, 44, v136
	ds_write_b128 v179, v[0:3] offset:4992
	ds_write_b128 v12, v[6:9] offset:14976
	ds_read_b128 v[0:3], v179 offset:5824
	ds_read_b128 v[4:7], v12 offset:14144
	global_load_dwordx4 v[8:11], v[29:30], off offset:128
	s_waitcnt lgkmcnt(0)
	v_add_f64 v[13:14], v[0:1], v[4:5]
	v_add_f64 v[15:16], v[6:7], v[2:3]
	v_add_f64 v[31:32], v[0:1], -v[4:5]
	v_add_f64 v[0:1], v[2:3], -v[6:7]
	s_waitcnt vmcnt(3)
	v_fma_f64 v[2:3], v[31:32], v[19:20], v[13:14]
	v_fma_f64 v[4:5], v[15:16], v[19:20], v[0:1]
	v_fma_f64 v[6:7], -v[31:32], v[19:20], v[13:14]
	v_fma_f64 v[13:14], v[15:16], v[19:20], -v[0:1]
	v_fma_f64 v[0:1], -v[15:16], v[17:18], v[2:3]
	v_fma_f64 v[2:3], v[31:32], v[17:18], v[4:5]
	v_fma_f64 v[4:5], v[15:16], v[17:18], v[6:7]
	;; [unrolled: 1-line block ×3, first 2 shown]
	ds_write_b128 v179, v[0:3] offset:5824
	ds_write_b128 v12, v[4:7] offset:14144
	ds_read_b128 v[4:7], v179 offset:6656
	ds_read_b128 v[13:16], v12 offset:13312
	global_load_dwordx4 v[0:3], v[29:30], off offset:960
	s_waitcnt lgkmcnt(0)
	v_add_f64 v[17:18], v[4:5], v[13:14]
	v_add_f64 v[19:20], v[15:16], v[6:7]
	v_add_f64 v[29:30], v[4:5], -v[13:14]
	v_add_f64 v[4:5], v[6:7], -v[15:16]
	s_waitcnt vmcnt(3)
	v_fma_f64 v[6:7], v[29:30], v[27:28], v[17:18]
	v_fma_f64 v[13:14], v[19:20], v[27:28], v[4:5]
	v_fma_f64 v[15:16], -v[29:30], v[27:28], v[17:18]
	v_fma_f64 v[17:18], v[19:20], v[27:28], -v[4:5]
	v_fma_f64 v[4:5], -v[19:20], v[25:26], v[6:7]
	v_fma_f64 v[6:7], v[29:30], v[25:26], v[13:14]
	v_fma_f64 v[13:14], v[19:20], v[25:26], v[15:16]
	v_fma_f64 v[15:16], v[29:30], v[25:26], v[17:18]
	ds_write_b128 v179, v[4:7] offset:6656
	ds_write_b128 v12, v[13:16] offset:13312
	ds_read_b128 v[4:7], v179 offset:7488
	ds_read_b128 v[13:16], v12 offset:12480
	s_waitcnt lgkmcnt(0)
	v_add_f64 v[17:18], v[4:5], v[13:14]
	v_add_f64 v[19:20], v[15:16], v[6:7]
	v_add_f64 v[25:26], v[4:5], -v[13:14]
	v_add_f64 v[4:5], v[6:7], -v[15:16]
	s_waitcnt vmcnt(2)
	v_fma_f64 v[6:7], v[25:26], v[23:24], v[17:18]
	v_fma_f64 v[13:14], v[19:20], v[23:24], v[4:5]
	v_fma_f64 v[15:16], -v[25:26], v[23:24], v[17:18]
	v_fma_f64 v[17:18], v[19:20], v[23:24], -v[4:5]
	v_fma_f64 v[4:5], -v[19:20], v[21:22], v[6:7]
	v_fma_f64 v[6:7], v[25:26], v[21:22], v[13:14]
	v_fma_f64 v[13:14], v[19:20], v[21:22], v[15:16]
	v_fma_f64 v[15:16], v[25:26], v[21:22], v[17:18]
	ds_write_b128 v179, v[4:7] offset:7488
	ds_write_b128 v12, v[13:16] offset:12480
	ds_read_b128 v[4:7], v179 offset:8320
	ds_read_b128 v[13:16], v12 offset:11648
	;; [unrolled: 18-line block ×3, first 2 shown]
	s_waitcnt lgkmcnt(0)
	v_add_f64 v[17:18], v[6:7], v[13:14]
	v_add_f64 v[4:5], v[15:16], v[8:9]
	v_add_f64 v[6:7], v[6:7], -v[13:14]
	v_add_f64 v[13:14], v[8:9], -v[15:16]
	s_waitcnt vmcnt(0)
	v_fma_f64 v[8:9], v[6:7], v[2:3], v[17:18]
	v_fma_f64 v[10:11], v[4:5], v[2:3], v[13:14]
	v_fma_f64 v[15:16], -v[6:7], v[2:3], v[17:18]
	v_fma_f64 v[17:18], v[4:5], v[2:3], -v[13:14]
	v_lshl_add_u32 v2, v136, 5, 0
	v_lshl_add_u32 v3, v184, 5, 0
	v_fma_f64 v[8:9], -v[4:5], v[0:1], v[8:9]
	v_fma_f64 v[10:11], v[6:7], v[0:1], v[10:11]
	v_fma_f64 v[13:14], v[4:5], v[0:1], v[15:16]
	;; [unrolled: 1-line block ×3, first 2 shown]
	v_lshl_add_u32 v0, v188, 5, 0
	v_and_b32_e32 v4, 1, v136
	v_lshl_add_u32 v1, v141, 5, 0
	ds_write_b128 v179, v[8:11] offset:9152
	ds_write_b128 v12, v[13:16] offset:10816
	s_waitcnt lgkmcnt(0)
	s_barrier
	buffer_gl0_inv
	s_barrier
	buffer_gl0_inv
	ds_read_b128 v[5:8], v179
	ds_read_b128 v[9:12], v179 offset:832
	ds_read_b128 v[13:16], v179 offset:9984
	;; [unrolled: 1-line block ×23, first 2 shown]
	s_waitcnt lgkmcnt(21)
	v_add_f64 v[13:14], v[5:6], -v[13:14]
	v_add_f64 v[15:16], v[7:8], -v[15:16]
	s_waitcnt lgkmcnt(20)
	v_add_f64 v[17:18], v[9:10], -v[17:18]
	v_add_f64 v[19:20], v[11:12], -v[19:20]
	;; [unrolled: 3-line block ×12, first 2 shown]
	v_fma_f64 v[5:6], v[5:6], 2.0, -v[13:14]
	v_fma_f64 v[7:8], v[7:8], 2.0, -v[15:16]
	;; [unrolled: 1-line block ×4, first 2 shown]
	s_barrier
	buffer_gl0_inv
	ds_write_b128 v2, v[13:16] offset:16
	v_fma_f64 v[13:14], v[21:22], 2.0, -v[29:30]
	v_fma_f64 v[15:16], v[23:24], 2.0, -v[31:32]
	ds_write_b128 v0, v[17:20] offset:16
	v_fma_f64 v[17:18], v[25:26], 2.0, -v[33:34]
	v_fma_f64 v[19:20], v[27:28], 2.0, -v[35:36]
	;; [unrolled: 1-line block ×8, first 2 shown]
	v_lshlrev_b32_e32 v109, 4, v4
	v_fma_f64 v[41:42], v[57:58], 2.0, -v[65:66]
	v_fma_f64 v[43:44], v[59:60], 2.0, -v[67:68]
	;; [unrolled: 1-line block ×10, first 2 shown]
	ds_write_b128 v1, v[29:32] offset:16
	ds_write_b128 v3, v[33:36] offset:16
	;; [unrolled: 1-line block ×10, first 2 shown]
	ds_write_b128 v2, v[5:8]
	ds_write_b128 v0, v[9:12]
	;; [unrolled: 1-line block ×12, first 2 shown]
	s_waitcnt lgkmcnt(0)
	s_barrier
	buffer_gl0_inv
	global_load_dwordx4 v[0:3], v109, s[8:9]
	v_and_or_b32 v5, 0x7c, v140, v4
	v_lshlrev_b32_e32 v6, 1, v141
	v_lshlrev_b32_e32 v7, 1, v184
	v_lshlrev_b32_e32 v8, 1, v137
	v_lshlrev_b32_e32 v9, 1, v180
	v_lshlrev_b32_e32 v10, 1, v181
	v_lshlrev_b32_e32 v11, 1, v182
	v_lshlrev_b32_e32 v12, 1, v183
	v_lshlrev_b32_e32 v13, 1, v185
	v_lshlrev_b32_e32 v14, 1, v186
	v_lshlrev_b32_e32 v15, 1, v187
	v_lshl_add_u32 v157, v5, 4, 0
	v_and_or_b32 v5, 0xfc, v146, v4
	v_and_or_b32 v6, 0x1fc, v6, v4
	;; [unrolled: 1-line block ×11, first 2 shown]
	v_lshl_add_u32 v158, v5, 4, 0
	v_lshl_add_u32 v159, v6, 4, 0
	;; [unrolled: 1-line block ×11, first 2 shown]
	ds_read_b128 v[4:7], v179 offset:9984
	ds_read_b128 v[8:11], v179 offset:10816
	;; [unrolled: 1-line block ×12, first 2 shown]
	ds_read_b128 v[52:55], v179
	ds_read_b128 v[56:59], v179 offset:832
	ds_read_b128 v[60:63], v179 offset:1664
	;; [unrolled: 1-line block ×11, first 2 shown]
	s_waitcnt vmcnt(0) lgkmcnt(0)
	s_barrier
	buffer_gl0_inv
	v_mul_f64 v[100:101], v[6:7], v[2:3]
	v_mul_f64 v[102:103], v[4:5], v[2:3]
	;; [unrolled: 1-line block ×24, first 2 shown]
	v_fma_f64 v[4:5], v[4:5], v[0:1], v[100:101]
	v_fma_f64 v[6:7], v[6:7], v[0:1], -v[102:103]
	v_fma_f64 v[8:9], v[8:9], v[0:1], v[104:105]
	v_fma_f64 v[10:11], v[10:11], v[0:1], -v[106:107]
	;; [unrolled: 2-line block ×12, first 2 shown]
	v_add_f64 v[12:13], v[52:53], -v[4:5]
	v_add_f64 v[14:15], v[54:55], -v[6:7]
	;; [unrolled: 1-line block ×24, first 2 shown]
	v_fma_f64 v[52:53], v[52:53], 2.0, -v[12:13]
	v_fma_f64 v[54:55], v[54:55], 2.0, -v[14:15]
	;; [unrolled: 1-line block ×14, first 2 shown]
	ds_write_b128 v157, v[12:15] offset:32
	v_fma_f64 v[12:13], v[80:81], 2.0, -v[4:5]
	v_fma_f64 v[14:15], v[82:83], 2.0, -v[6:7]
	;; [unrolled: 1-line block ×10, first 2 shown]
	ds_write_b128 v157, v[52:55]
	ds_write_b128 v158, v[56:59]
	ds_write_b128 v158, v[44:47] offset:32
	ds_write_b128 v159, v[60:63]
	ds_write_b128 v159, v[48:51] offset:32
	;; [unrolled: 2-line block ×11, first 2 shown]
	s_waitcnt lgkmcnt(0)
	s_barrier
	buffer_gl0_inv
	ds_read_b128 v[104:107], v179
	ds_read_b128 v[84:87], v179 offset:1536
	ds_read_b128 v[80:83], v179 offset:3072
	ds_read_b128 v[76:79], v179 offset:4608
	ds_read_b128 v[72:75], v179 offset:6144
	ds_read_b128 v[96:99], v179 offset:7680
	ds_read_b128 v[92:95], v179 offset:9216
	ds_read_b128 v[88:91], v179 offset:10752
	ds_read_b128 v[68:71], v179 offset:12288
	ds_read_b128 v[116:119], v179 offset:13824
	ds_read_b128 v[112:115], v179 offset:15360
	ds_read_b128 v[108:111], v179 offset:16896
	ds_read_b128 v[100:103], v179 offset:18432
                                        ; implicit-def: $vgpr50_vgpr51
                                        ; implicit-def: $vgpr46_vgpr47
	s_and_saveexec_b32 s1, s0
	s_cbranch_execz .LBB0_19
; %bb.18:
	ds_read_b128 v[0:3], v179 offset:832
	ds_read_b128 v[12:15], v179 offset:2368
	;; [unrolled: 1-line block ×13, first 2 shown]
.LBB0_19:
	s_or_b32 exec_lo, exec_lo, s1
	v_and_b32_e32 v189, 3, v136
	s_mov_b32 s12, 0x4267c47c
	s_mov_b32 s16, 0x42a4c3d2
	s_mov_b32 s22, 0x66966769
	s_mov_b32 s28, 0x2ef20147
	v_mul_u32_u24_e32 v52, 12, v189
	s_mov_b32 s30, 0x24c2f84
	s_mov_b32 s36, 0x4bc48dbf
	;; [unrolled: 1-line block ×4, first 2 shown]
	v_lshlrev_b32_e32 v153, 4, v52
	s_mov_b32 s23, 0xbfefc445
	s_mov_b32 s29, 0xbfedeba7
	;; [unrolled: 1-line block ×4, first 2 shown]
	s_clause 0x3
	global_load_dwordx4 v[60:63], v153, s[8:9] offset:80
	global_load_dwordx4 v[52:55], v153, s[8:9] offset:64
	;; [unrolled: 1-line block ×4, first 2 shown]
	s_mov_b32 s4, 0xe00740e9
	s_mov_b32 s10, 0x1ea71119
	;; [unrolled: 1-line block ×24, first 2 shown]
	s_waitcnt vmcnt(0) lgkmcnt(11)
	v_mul_f64 v[120:121], v[86:87], v[66:67]
	v_fma_f64 v[161:162], v[84:85], v[64:65], v[120:121]
	v_mul_f64 v[84:85], v[84:85], v[66:67]
	v_fma_f64 v[163:164], v[86:87], v[64:65], -v[84:85]
	s_waitcnt lgkmcnt(10)
	v_mul_f64 v[84:85], v[82:83], v[58:59]
	v_fma_f64 v[159:160], v[80:81], v[56:57], v[84:85]
	v_mul_f64 v[80:81], v[80:81], v[58:59]
	v_fma_f64 v[157:158], v[82:83], v[56:57], -v[80:81]
	s_waitcnt lgkmcnt(9)
	;; [unrolled: 5-line block ×3, first 2 shown]
	v_mul_f64 v[76:77], v[74:75], v[62:63]
	v_fma_f64 v[149:150], v[72:73], v[60:61], v[76:77]
	v_mul_f64 v[72:73], v[72:73], v[62:63]
	v_fma_f64 v[147:148], v[74:75], v[60:61], -v[72:73]
	s_clause 0x3
	global_load_dwordx4 v[72:75], v153, s[8:9] offset:144
	global_load_dwordx4 v[76:79], v153, s[8:9] offset:128
	;; [unrolled: 1-line block ×4, first 2 shown]
	s_waitcnt vmcnt(0) lgkmcnt(7)
	v_mul_f64 v[120:121], v[98:99], v[86:87]
	v_fma_f64 v[132:133], v[96:97], v[84:85], v[120:121]
	v_mul_f64 v[96:97], v[96:97], v[86:87]
	v_fma_f64 v[128:129], v[98:99], v[84:85], -v[96:97]
	s_waitcnt lgkmcnt(6)
	v_mul_f64 v[96:97], v[94:95], v[82:83]
	v_fma_f64 v[124:125], v[92:93], v[80:81], v[96:97]
	v_mul_f64 v[92:93], v[92:93], v[82:83]
	v_fma_f64 v[120:121], v[94:95], v[80:81], -v[92:93]
	s_waitcnt lgkmcnt(5)
	;; [unrolled: 5-line block ×3, first 2 shown]
	v_mul_f64 v[88:89], v[70:71], v[74:75]
	v_fma_f64 v[134:135], v[68:69], v[72:73], v[88:89]
	v_mul_f64 v[68:69], v[68:69], v[74:75]
	v_fma_f64 v[130:131], v[70:71], v[72:73], -v[68:69]
	s_clause 0x3
	global_load_dwordx4 v[92:95], v153, s[8:9] offset:208
	global_load_dwordx4 v[88:91], v153, s[8:9] offset:192
	;; [unrolled: 1-line block ×4, first 2 shown]
	s_waitcnt vmcnt(0) lgkmcnt(0)
	s_barrier
	buffer_gl0_inv
	v_mul_f64 v[153:154], v[118:119], v[98:99]
	v_fma_f64 v[153:154], v[116:117], v[96:97], v[153:154]
	v_mul_f64 v[116:117], v[116:117], v[98:99]
	v_fma_f64 v[116:117], v[118:119], v[96:97], -v[116:117]
	v_mul_f64 v[118:119], v[114:115], v[70:71]
	v_fma_f64 v[118:119], v[112:113], v[68:69], v[118:119]
	v_mul_f64 v[112:113], v[112:113], v[70:71]
	v_fma_f64 v[112:113], v[114:115], v[68:69], -v[112:113]
	;; [unrolled: 4-line block ×3, first 2 shown]
	v_mul_f64 v[110:111], v[102:103], v[94:95]
	v_fma_f64 v[110:111], v[100:101], v[92:93], v[110:111]
	v_mul_f64 v[100:101], v[100:101], v[94:95]
	v_add_f64 v[177:178], v[161:162], v[110:111]
	v_fma_f64 v[165:166], v[102:103], v[92:93], -v[100:101]
	v_add_f64 v[100:101], v[104:105], v[161:162]
	v_add_f64 v[102:103], v[106:107], v[163:164]
	v_add_f64 v[192:193], v[163:164], -v[165:166]
	v_add_f64 v[100:101], v[100:101], v[159:160]
	v_add_f64 v[102:103], v[102:103], v[157:158]
	;; [unrolled: 1-line block ×3, first 2 shown]
	v_mul_f64 v[163:164], v[192:193], s[12:13]
	v_add_f64 v[100:101], v[100:101], v[155:156]
	v_add_f64 v[102:103], v[102:103], v[151:152]
	v_mul_f64 v[173:174], v[192:193], s[16:17]
	v_mul_f64 v[194:195], v[192:193], s[22:23]
	v_mul_f64 v[202:203], v[192:193], s[28:29]
	v_mul_f64 v[210:211], v[192:193], s[30:31]
	v_mul_f64 v[192:193], v[192:193], s[36:37]
	v_mul_f64 v[175:176], v[190:191], s[10:11]
	v_mul_f64 v[198:199], v[190:191], s[14:15]
	v_mul_f64 v[206:207], v[190:191], s[24:25]
	v_mul_f64 v[214:215], v[190:191], s[26:27]
	v_add_f64 v[100:101], v[100:101], v[149:150]
	v_add_f64 v[102:103], v[102:103], v[147:148]
	v_fma_f64 v[169:170], v[177:178], s[10:11], v[173:174]
	v_fma_f64 v[173:174], v[177:178], s[10:11], -v[173:174]
	v_fma_f64 v[196:197], v[177:178], s[14:15], v[194:195]
	v_fma_f64 v[194:195], v[177:178], s[14:15], -v[194:195]
	;; [unrolled: 2-line block ×4, first 2 shown]
	v_fma_f64 v[218:219], v[177:178], s[34:35], v[192:193]
	v_add_f64 v[100:101], v[100:101], v[132:133]
	v_add_f64 v[102:103], v[102:103], v[128:129]
	;; [unrolled: 1-line block ×25, first 2 shown]
	v_add_f64 v[110:111], v[161:162], -v[110:111]
	v_fma_f64 v[161:162], v[177:178], s[4:5], v[163:164]
	v_mul_f64 v[165:166], v[190:191], s[4:5]
	v_fma_f64 v[163:164], v[177:178], s[4:5], -v[163:164]
	v_mul_f64 v[190:191], v[190:191], s[34:35]
	v_fma_f64 v[177:178], v[177:178], s[34:35], -v[192:193]
	v_fma_f64 v[171:172], v[110:111], s[20:21], v[175:176]
	v_add_f64 v[167:168], v[104:105], v[161:162]
	v_fma_f64 v[161:162], v[110:111], s[6:7], v[165:166]
	v_add_f64 v[163:164], v[104:105], v[163:164]
	v_fma_f64 v[165:166], v[110:111], s[12:13], v[165:166]
	v_fma_f64 v[175:176], v[110:111], s[16:17], v[175:176]
	;; [unrolled: 1-line block ×9, first 2 shown]
	v_add_f64 v[104:105], v[104:105], v[177:178]
	v_fma_f64 v[110:111], v[110:111], s[36:37], v[190:191]
	v_add_f64 v[177:178], v[157:158], v[108:109]
	v_add_f64 v[108:109], v[157:158], -v[108:109]
	v_add_f64 v[171:172], v[106:107], v[171:172]
	v_add_f64 v[161:162], v[106:107], v[161:162]
	;; [unrolled: 1-line block ×13, first 2 shown]
	v_mul_f64 v[157:158], v[108:109], s[16:17]
	v_add_f64 v[114:115], v[159:160], -v[114:115]
	v_fma_f64 v[159:160], v[110:111], s[10:11], v[157:158]
	v_fma_f64 v[157:158], v[110:111], s[10:11], -v[157:158]
	v_add_f64 v[159:160], v[159:160], v[167:168]
	v_mul_f64 v[167:168], v[177:178], s[10:11]
	v_add_f64 v[157:158], v[157:158], v[163:164]
	v_fma_f64 v[163:164], v[114:115], s[16:17], v[167:168]
	v_fma_f64 v[190:191], v[114:115], s[20:21], v[167:168]
	v_add_f64 v[163:164], v[163:164], v[165:166]
	v_mul_f64 v[165:166], v[108:109], s[28:29]
	v_add_f64 v[161:162], v[190:191], v[161:162]
	v_fma_f64 v[167:168], v[110:111], s[24:25], v[165:166]
	v_fma_f64 v[165:166], v[110:111], s[24:25], -v[165:166]
	v_add_f64 v[167:168], v[167:168], v[169:170]
	v_mul_f64 v[169:170], v[177:178], s[24:25]
	v_add_f64 v[165:166], v[165:166], v[173:174]
	v_mul_f64 v[173:174], v[108:109], s[36:37]
	v_fma_f64 v[190:191], v[114:115], s[40:41], v[169:170]
	v_fma_f64 v[169:170], v[114:115], s[28:29], v[169:170]
	v_add_f64 v[171:172], v[190:191], v[171:172]
	v_add_f64 v[169:170], v[169:170], v[175:176]
	v_fma_f64 v[175:176], v[110:111], s[34:35], v[173:174]
	v_fma_f64 v[173:174], v[110:111], s[34:35], -v[173:174]
	v_mul_f64 v[190:191], v[177:178], s[34:35]
	v_add_f64 v[175:176], v[175:176], v[196:197]
	v_add_f64 v[173:174], v[173:174], v[194:195]
	v_mul_f64 v[194:195], v[108:109], s[38:39]
	v_fma_f64 v[192:193], v[114:115], s[42:43], v[190:191]
	v_fma_f64 v[190:191], v[114:115], s[36:37], v[190:191]
	v_fma_f64 v[196:197], v[110:111], s[26:27], v[194:195]
	v_fma_f64 v[194:195], v[110:111], s[26:27], -v[194:195]
	v_add_f64 v[190:191], v[190:191], v[198:199]
	v_mul_f64 v[198:199], v[177:178], s[26:27]
	v_add_f64 v[192:193], v[192:193], v[200:201]
	v_add_f64 v[196:197], v[196:197], v[204:205]
	;; [unrolled: 1-line block ×3, first 2 shown]
	v_mul_f64 v[202:203], v[108:109], s[18:19]
	v_fma_f64 v[200:201], v[114:115], s[30:31], v[198:199]
	v_fma_f64 v[198:199], v[114:115], s[38:39], v[198:199]
	v_mul_f64 v[108:109], v[108:109], s[6:7]
	v_fma_f64 v[204:205], v[110:111], s[14:15], v[202:203]
	v_fma_f64 v[202:203], v[110:111], s[14:15], -v[202:203]
	v_add_f64 v[198:199], v[198:199], v[206:207]
	v_mul_f64 v[206:207], v[177:178], s[14:15]
	v_mul_f64 v[177:178], v[177:178], s[4:5]
	v_add_f64 v[200:201], v[200:201], v[208:209]
	v_add_f64 v[204:205], v[204:205], v[212:213]
	v_add_f64 v[202:203], v[202:203], v[210:211]
	v_fma_f64 v[210:211], v[110:111], s[4:5], v[108:109]
	v_fma_f64 v[108:109], v[110:111], s[4:5], -v[108:109]
	v_add_f64 v[110:111], v[151:152], v[112:113]
	v_add_f64 v[112:113], v[151:152], -v[112:113]
	v_fma_f64 v[208:209], v[114:115], s[22:23], v[206:207]
	v_fma_f64 v[206:207], v[114:115], s[18:19], v[206:207]
	;; [unrolled: 1-line block ×3, first 2 shown]
	v_add_f64 v[210:211], v[210:211], v[218:219]
	v_add_f64 v[104:105], v[108:109], v[104:105]
	v_fma_f64 v[108:109], v[114:115], s[6:7], v[177:178]
	v_add_f64 v[114:115], v[155:156], -v[118:119]
	v_add_f64 v[208:209], v[208:209], v[216:217]
	v_add_f64 v[206:207], v[206:207], v[214:215]
	;; [unrolled: 1-line block ×5, first 2 shown]
	v_mul_f64 v[118:119], v[112:113], s[22:23]
	v_mul_f64 v[155:156], v[110:111], s[14:15]
	v_fma_f64 v[151:152], v[108:109], s[14:15], v[118:119]
	v_fma_f64 v[118:119], v[108:109], s[14:15], -v[118:119]
	v_add_f64 v[151:152], v[151:152], v[159:160]
	v_fma_f64 v[159:160], v[114:115], s[18:19], v[155:156]
	v_add_f64 v[118:119], v[118:119], v[157:158]
	v_fma_f64 v[155:156], v[114:115], s[22:23], v[155:156]
	v_mul_f64 v[157:158], v[112:113], s[36:37]
	v_add_f64 v[159:160], v[159:160], v[161:162]
	v_add_f64 v[155:156], v[155:156], v[163:164]
	v_fma_f64 v[161:162], v[108:109], s[34:35], v[157:158]
	v_mul_f64 v[163:164], v[110:111], s[34:35]
	v_fma_f64 v[157:158], v[108:109], s[34:35], -v[157:158]
	v_add_f64 v[161:162], v[161:162], v[167:168]
	v_fma_f64 v[167:168], v[114:115], s[42:43], v[163:164]
	v_add_f64 v[157:158], v[157:158], v[165:166]
	v_fma_f64 v[163:164], v[114:115], s[36:37], v[163:164]
	v_mul_f64 v[165:166], v[112:113], s[40:41]
	v_add_f64 v[167:168], v[167:168], v[171:172]
	v_mul_f64 v[171:172], v[110:111], s[24:25]
	v_add_f64 v[163:164], v[163:164], v[169:170]
	v_fma_f64 v[169:170], v[108:109], s[24:25], v[165:166]
	v_fma_f64 v[165:166], v[108:109], s[24:25], -v[165:166]
	v_add_f64 v[169:170], v[169:170], v[175:176]
	v_add_f64 v[165:166], v[165:166], v[173:174]
	v_mul_f64 v[173:174], v[112:113], s[6:7]
	v_fma_f64 v[175:176], v[114:115], s[28:29], v[171:172]
	v_fma_f64 v[171:172], v[114:115], s[40:41], v[171:172]
	;; [unrolled: 1-line block ×3, first 2 shown]
	v_fma_f64 v[173:174], v[108:109], s[4:5], -v[173:174]
	v_add_f64 v[171:172], v[171:172], v[190:191]
	v_mul_f64 v[190:191], v[110:111], s[4:5]
	v_add_f64 v[175:176], v[175:176], v[192:193]
	v_add_f64 v[177:178], v[177:178], v[196:197]
	;; [unrolled: 1-line block ×3, first 2 shown]
	v_mul_f64 v[194:195], v[112:113], s[16:17]
	v_fma_f64 v[192:193], v[114:115], s[12:13], v[190:191]
	v_fma_f64 v[190:191], v[114:115], s[6:7], v[190:191]
	v_mul_f64 v[112:113], v[112:113], s[30:31]
	v_fma_f64 v[196:197], v[108:109], s[10:11], v[194:195]
	v_fma_f64 v[194:195], v[108:109], s[10:11], -v[194:195]
	v_add_f64 v[190:191], v[190:191], v[198:199]
	v_mul_f64 v[198:199], v[110:111], s[10:11]
	v_mul_f64 v[110:111], v[110:111], s[26:27]
	v_add_f64 v[192:193], v[192:193], v[200:201]
	v_add_f64 v[196:197], v[196:197], v[204:205]
	;; [unrolled: 1-line block ×3, first 2 shown]
	v_fma_f64 v[202:203], v[108:109], s[26:27], v[112:113]
	v_fma_f64 v[108:109], v[108:109], s[26:27], -v[112:113]
	v_fma_f64 v[200:201], v[114:115], s[20:21], v[198:199]
	v_fma_f64 v[198:199], v[114:115], s[16:17], v[198:199]
	;; [unrolled: 1-line block ×3, first 2 shown]
	v_add_f64 v[112:113], v[149:150], -v[153:154]
	v_add_f64 v[202:203], v[202:203], v[210:211]
	v_add_f64 v[104:105], v[108:109], v[104:105]
	v_fma_f64 v[108:109], v[114:115], s[30:31], v[110:111]
	v_add_f64 v[114:115], v[147:148], -v[116:117]
	v_add_f64 v[110:111], v[147:148], v[116:117]
	v_add_f64 v[198:199], v[198:199], v[206:207]
	;; [unrolled: 1-line block ×6, first 2 shown]
	v_mul_f64 v[116:117], v[114:115], s[28:29]
	v_mul_f64 v[149:150], v[110:111], s[24:25]
	v_fma_f64 v[147:148], v[108:109], s[24:25], v[116:117]
	v_fma_f64 v[116:117], v[108:109], s[24:25], -v[116:117]
	v_add_f64 v[147:148], v[147:148], v[151:152]
	v_add_f64 v[116:117], v[116:117], v[118:119]
	v_fma_f64 v[118:119], v[112:113], s[28:29], v[149:150]
	v_fma_f64 v[151:152], v[112:113], s[40:41], v[149:150]
	v_mul_f64 v[149:150], v[114:115], s[38:39]
	v_add_f64 v[118:119], v[118:119], v[155:156]
	v_mul_f64 v[155:156], v[110:111], s[26:27]
	v_add_f64 v[151:152], v[151:152], v[159:160]
	v_fma_f64 v[153:154], v[108:109], s[26:27], v[149:150]
	v_fma_f64 v[149:150], v[108:109], s[26:27], -v[149:150]
	v_fma_f64 v[159:160], v[112:113], s[30:31], v[155:156]
	v_fma_f64 v[155:156], v[112:113], s[38:39], v[155:156]
	v_add_f64 v[153:154], v[153:154], v[161:162]
	v_add_f64 v[149:150], v[149:150], v[157:158]
	v_mul_f64 v[157:158], v[114:115], s[6:7]
	v_add_f64 v[159:160], v[159:160], v[167:168]
	v_add_f64 v[155:156], v[155:156], v[163:164]
	v_mul_f64 v[163:164], v[110:111], s[4:5]
	v_fma_f64 v[161:162], v[108:109], s[4:5], v[157:158]
	v_fma_f64 v[157:158], v[108:109], s[4:5], -v[157:158]
	v_fma_f64 v[167:168], v[112:113], s[12:13], v[163:164]
	v_fma_f64 v[163:164], v[112:113], s[6:7], v[163:164]
	v_add_f64 v[161:162], v[161:162], v[169:170]
	v_add_f64 v[157:158], v[157:158], v[165:166]
	v_mul_f64 v[165:166], v[114:115], s[22:23]
	v_add_f64 v[167:168], v[167:168], v[175:176]
	v_add_f64 v[163:164], v[163:164], v[171:172]
	v_mul_f64 v[171:172], v[110:111], s[14:15]
	v_fma_f64 v[169:170], v[108:109], s[14:15], v[165:166]
	v_fma_f64 v[165:166], v[108:109], s[14:15], -v[165:166]
	v_fma_f64 v[175:176], v[112:113], s[18:19], v[171:172]
	v_fma_f64 v[171:172], v[112:113], s[22:23], v[171:172]
	v_add_f64 v[169:170], v[169:170], v[177:178]
	v_add_f64 v[165:166], v[165:166], v[173:174]
	;; [unrolled: 1-line block ×4, first 2 shown]
	v_mul_f64 v[171:172], v[114:115], s[42:43]
	v_mul_f64 v[114:115], v[114:115], s[20:21]
	v_fma_f64 v[173:174], v[108:109], s[34:35], v[171:172]
	v_fma_f64 v[171:172], v[108:109], s[34:35], -v[171:172]
	v_add_f64 v[196:197], v[173:174], v[196:197]
	v_mul_f64 v[173:174], v[110:111], s[34:35]
	v_add_f64 v[194:195], v[171:172], v[194:195]
	v_mul_f64 v[110:111], v[110:111], s[10:11]
	v_fma_f64 v[171:172], v[112:113], s[42:43], v[173:174]
	v_fma_f64 v[175:176], v[112:113], s[36:37], v[173:174]
	v_add_f64 v[198:199], v[171:172], v[198:199]
	v_fma_f64 v[171:172], v[108:109], s[10:11], v[114:115]
	v_fma_f64 v[108:109], v[108:109], s[10:11], -v[114:115]
	v_add_f64 v[114:115], v[128:129], -v[130:131]
	v_add_f64 v[200:201], v[175:176], v[200:201]
	v_add_f64 v[202:203], v[171:172], v[202:203]
	;; [unrolled: 1-line block ×3, first 2 shown]
	v_fma_f64 v[108:109], v[112:113], s[20:21], v[110:111]
	v_fma_f64 v[171:172], v[112:113], s[16:17], v[110:111]
	v_add_f64 v[110:111], v[128:129], v[130:131]
	v_mul_f64 v[128:129], v[114:115], s[30:31]
	v_add_f64 v[112:113], v[132:133], -v[134:135]
	v_add_f64 v[106:107], v[108:109], v[106:107]
	v_add_f64 v[108:109], v[132:133], v[134:135]
	;; [unrolled: 1-line block ×3, first 2 shown]
	v_mul_f64 v[134:135], v[110:111], s[34:35]
	v_fma_f64 v[130:131], v[108:109], s[26:27], v[128:129]
	v_fma_f64 v[128:129], v[108:109], s[26:27], -v[128:129]
	v_add_f64 v[206:207], v[130:131], v[147:148]
	v_mul_f64 v[130:131], v[110:111], s[26:27]
	v_add_f64 v[116:117], v[128:129], v[116:117]
	v_mul_f64 v[147:148], v[114:115], s[6:7]
	v_fma_f64 v[128:129], v[112:113], s[30:31], v[130:131]
	v_fma_f64 v[132:133], v[112:113], s[38:39], v[130:131]
	v_add_f64 v[118:119], v[128:129], v[118:119]
	v_mul_f64 v[128:129], v[114:115], s[18:19]
	v_add_f64 v[208:209], v[132:133], v[151:152]
	v_fma_f64 v[130:131], v[108:109], s[14:15], v[128:129]
	v_fma_f64 v[128:129], v[108:109], s[14:15], -v[128:129]
	v_add_f64 v[210:211], v[130:131], v[153:154]
	v_mul_f64 v[130:131], v[110:111], s[14:15]
	v_add_f64 v[214:215], v[128:129], v[149:150]
	v_fma_f64 v[149:150], v[108:109], s[4:5], v[147:148]
	v_fma_f64 v[147:148], v[108:109], s[4:5], -v[147:148]
	v_add_f64 v[153:154], v[124:125], v[126:127]
	v_fma_f64 v[128:129], v[112:113], s[18:19], v[130:131]
	v_fma_f64 v[132:133], v[112:113], s[22:23], v[130:131]
	v_add_f64 v[216:217], v[128:129], v[155:156]
	v_mul_f64 v[128:129], v[114:115], s[16:17]
	v_add_f64 v[212:213], v[132:133], v[159:160]
	v_add_f64 v[159:160], v[120:121], v[122:123]
	v_fma_f64 v[130:131], v[108:109], s[10:11], v[128:129]
	v_fma_f64 v[128:129], v[108:109], s[10:11], -v[128:129]
	v_add_f64 v[177:178], v[130:131], v[161:162]
	v_mul_f64 v[130:131], v[110:111], s[10:11]
	v_add_f64 v[173:174], v[128:129], v[157:158]
	v_fma_f64 v[132:133], v[112:113], s[20:21], v[130:131]
	v_fma_f64 v[128:129], v[112:113], s[16:17], v[130:131]
	;; [unrolled: 1-line block ×4, first 2 shown]
	v_add_f64 v[175:176], v[132:133], v[167:168]
	v_mul_f64 v[132:133], v[114:115], s[42:43]
	v_add_f64 v[171:172], v[128:129], v[163:164]
	v_add_f64 v[167:168], v[149:150], v[196:197]
	v_mul_f64 v[149:150], v[110:111], s[4:5]
	v_add_f64 v[163:164], v[147:148], v[194:195]
	v_add_f64 v[130:131], v[130:131], v[192:193]
	;; [unrolled: 1-line block ×3, first 2 shown]
	v_mul_f64 v[114:115], v[114:115], s[28:29]
	v_mul_f64 v[110:111], v[110:111], s[24:25]
	v_fma_f64 v[128:129], v[108:109], s[34:35], v[132:133]
	v_fma_f64 v[132:133], v[108:109], s[34:35], -v[132:133]
	v_fma_f64 v[151:152], v[112:113], s[12:13], v[149:150]
	v_fma_f64 v[147:148], v[112:113], s[6:7], v[149:150]
	v_add_f64 v[149:150], v[124:125], -v[126:127]
	v_mul_f64 v[126:127], v[159:160], s[26:27]
	v_add_f64 v[128:129], v[128:129], v[169:170]
	v_add_f64 v[169:170], v[120:121], -v[122:123]
	v_add_f64 v[132:133], v[132:133], v[165:166]
	v_add_f64 v[165:166], v[151:152], v[200:201]
	;; [unrolled: 1-line block ×3, first 2 shown]
	v_fma_f64 v[147:148], v[108:109], s[24:25], v[114:115]
	v_fma_f64 v[122:123], v[149:150], s[38:39], v[126:127]
	;; [unrolled: 1-line block ×3, first 2 shown]
	v_fma_f64 v[108:109], v[108:109], s[24:25], -v[114:115]
	v_mul_f64 v[124:125], v[169:170], s[30:31]
	v_add_f64 v[157:158], v[147:148], v[202:203]
	v_add_f64 v[122:123], v[122:123], v[175:176]
	;; [unrolled: 1-line block ×3, first 2 shown]
	v_mul_f64 v[171:172], v[169:170], s[20:21]
	v_fma_f64 v[147:148], v[112:113], s[40:41], v[110:111]
	v_add_f64 v[151:152], v[108:109], v[104:105]
	v_fma_f64 v[104:105], v[112:113], s[28:29], v[110:111]
	v_mul_f64 v[108:109], v[169:170], s[36:37]
	v_mul_f64 v[110:111], v[159:160], s[34:35]
	v_fma_f64 v[120:121], v[153:154], s[26:27], v[124:125]
	v_fma_f64 v[124:125], v[153:154], s[26:27], -v[124:125]
	v_add_f64 v[155:156], v[147:148], v[204:205]
	v_add_f64 v[147:148], v[104:105], v[106:107]
	v_fma_f64 v[104:105], v[153:154], s[34:35], v[108:109]
	v_fma_f64 v[106:107], v[149:150], s[42:43], v[110:111]
	v_fma_f64 v[108:109], v[153:154], s[34:35], -v[108:109]
	v_fma_f64 v[110:111], v[149:150], s[36:37], v[110:111]
	v_add_f64 v[120:121], v[120:121], v[177:178]
	v_add_f64 v[124:125], v[124:125], v[173:174]
	v_fma_f64 v[173:174], v[153:154], s[10:11], v[171:172]
	v_fma_f64 v[171:172], v[153:154], s[10:11], -v[171:172]
	v_add_f64 v[104:105], v[104:105], v[206:207]
	v_add_f64 v[106:107], v[106:107], v[208:209]
	;; [unrolled: 1-line block ×4, first 2 shown]
	v_mul_f64 v[116:117], v[169:170], s[6:7]
	v_mul_f64 v[118:119], v[159:160], s[4:5]
	v_add_f64 v[128:129], v[173:174], v[128:129]
	v_mul_f64 v[173:174], v[159:160], s[10:11]
	v_add_f64 v[132:133], v[171:172], v[132:133]
	v_fma_f64 v[112:113], v[153:154], s[4:5], v[116:117]
	v_fma_f64 v[114:115], v[149:150], s[12:13], v[118:119]
	v_fma_f64 v[116:117], v[153:154], s[4:5], -v[116:117]
	v_fma_f64 v[118:119], v[149:150], s[6:7], v[118:119]
	v_fma_f64 v[175:176], v[149:150], s[16:17], v[173:174]
	;; [unrolled: 1-line block ×3, first 2 shown]
	v_add_f64 v[112:113], v[112:113], v[210:211]
	v_add_f64 v[114:115], v[114:115], v[212:213]
	;; [unrolled: 1-line block ×5, first 2 shown]
	v_mul_f64 v[175:176], v[169:170], s[28:29]
	v_add_f64 v[134:135], v[171:172], v[134:135]
	v_fma_f64 v[171:172], v[153:154], s[24:25], v[175:176]
	v_add_f64 v[171:172], v[171:172], v[167:168]
	v_mul_f64 v[167:168], v[159:160], s[24:25]
	v_fma_f64 v[173:174], v[149:150], s[40:41], v[167:168]
	v_add_f64 v[173:174], v[173:174], v[165:166]
	v_fma_f64 v[165:166], v[153:154], s[24:25], -v[175:176]
	v_add_f64 v[163:164], v[165:166], v[163:164]
	v_fma_f64 v[165:166], v[149:150], s[28:29], v[167:168]
	v_add_f64 v[165:166], v[165:166], v[161:162]
	v_mul_f64 v[161:162], v[169:170], s[18:19]
	v_fma_f64 v[167:168], v[153:154], s[14:15], v[161:162]
	v_fma_f64 v[153:154], v[153:154], s[14:15], -v[161:162]
	v_add_f64 v[157:158], v[167:168], v[157:158]
	v_mul_f64 v[167:168], v[159:160], s[14:15]
	v_add_f64 v[151:152], v[153:154], v[151:152]
	v_fma_f64 v[159:160], v[149:150], s[22:23], v[167:168]
	v_fma_f64 v[149:150], v[149:150], s[18:19], v[167:168]
	v_add_f64 v[159:160], v[159:160], v[155:156]
	v_add_f64 v[153:154], v[149:150], v[147:148]
	v_lshrrev_b32_e32 v147, 2, v136
	v_mul_u32_u24_e32 v147, 52, v147
	v_or_b32_e32 v147, v147, v189
	v_lshl_add_u32 v147, v147, 4, 0
	ds_write_b128 v147, v[100:103]
	ds_write_b128 v147, v[104:107] offset:64
	ds_write_b128 v147, v[112:115] offset:128
	;; [unrolled: 1-line block ×12, first 2 shown]
	s_and_saveexec_b32 s1, s0
	s_cbranch_execz .LBB0_21
; %bb.20:
	v_mul_f64 v[100:101], v[26:27], v[82:83]
	v_mul_f64 v[104:105], v[14:15], v[66:67]
	;; [unrolled: 1-line block ×22, first 2 shown]
	v_fma_f64 v[58:59], v[24:25], v[80:81], v[100:101]
	v_mul_f64 v[100:101], v[16:17], v[54:55]
	v_fma_f64 v[104:105], v[12:13], v[64:65], v[104:105]
	v_fma_f64 v[12:13], v[48:49], v[92:93], v[106:107]
	v_fma_f64 v[106:107], v[14:15], v[64:65], -v[66:67]
	v_fma_f64 v[14:15], v[50:51], v[92:93], -v[94:95]
	v_mul_f64 v[64:65], v[20:21], v[70:71]
	v_fma_f64 v[36:37], v[36:37], v[76:77], v[102:103]
	v_fma_f64 v[48:49], v[26:27], v[80:81], -v[82:83]
	v_fma_f64 v[38:39], v[38:39], v[76:77], -v[78:79]
	;; [unrolled: 1-line block ×3, first 2 shown]
	v_fma_f64 v[86:87], v[4:5], v[56:57], v[120:121]
	v_fma_f64 v[4:5], v[44:45], v[88:89], v[122:123]
	v_fma_f64 v[90:91], v[6:7], v[56:57], -v[124:125]
	v_fma_f64 v[6:7], v[46:47], v[88:89], -v[126:127]
	v_fma_f64 v[80:81], v[16:17], v[52:53], v[118:119]
	v_fma_f64 v[50:51], v[28:29], v[84:85], v[108:109]
	;; [unrolled: 1-line block ×3, first 2 shown]
	v_fma_f64 v[30:31], v[34:35], v[72:73], -v[74:75]
	v_fma_f64 v[62:63], v[8:9], v[60:61], v[112:113]
	v_fma_f64 v[24:25], v[40:41], v[96:97], v[114:115]
	v_fma_f64 v[70:71], v[10:11], v[60:61], -v[116:117]
	v_fma_f64 v[26:27], v[42:43], v[96:97], -v[98:99]
	;; [unrolled: 1-line block ×3, first 2 shown]
	v_fma_f64 v[8:9], v[20:21], v[68:69], v[128:129]
	v_add_f64 v[52:53], v[104:105], -v[12:13]
	v_add_f64 v[60:61], v[104:105], v[12:13]
	v_add_f64 v[76:77], v[106:107], -v[14:15]
	v_fma_f64 v[18:19], v[22:23], v[68:69], -v[64:65]
	v_add_f64 v[64:65], v[106:107], v[14:15]
	v_add_f64 v[112:113], v[2:3], v[106:107]
	;; [unrolled: 1-line block ×3, first 2 shown]
	v_add_f64 v[20:21], v[58:59], -v[36:37]
	v_add_f64 v[66:67], v[48:49], -v[38:39]
	;; [unrolled: 1-line block ×3, first 2 shown]
	v_add_f64 v[92:93], v[86:87], v[4:5]
	v_add_f64 v[68:69], v[90:91], -v[6:7]
	v_add_f64 v[44:45], v[90:91], v[6:7]
	v_add_f64 v[10:11], v[48:49], v[38:39]
	v_add_f64 v[32:33], v[50:51], -v[28:29]
	v_add_f64 v[78:79], v[54:55], -v[30:31]
	v_add_f64 v[16:17], v[54:55], v[30:31]
	v_add_f64 v[42:43], v[62:63], -v[24:25]
	v_add_f64 v[74:75], v[62:63], v[24:25]
	;; [unrolled: 2-line block ×3, first 2 shown]
	v_add_f64 v[56:57], v[80:81], -v[8:9]
	v_mul_f64 v[96:97], v[52:53], s[36:37]
	v_mul_f64 v[100:101], v[52:53], s[30:31]
	;; [unrolled: 1-line block ×4, first 2 shown]
	v_add_f64 v[94:95], v[82:83], -v[18:19]
	v_add_f64 v[34:35], v[82:83], v[18:19]
	v_add_f64 v[84:85], v[80:81], v[8:9]
	;; [unrolled: 1-line block ×4, first 2 shown]
	v_mul_f64 v[108:109], v[72:73], s[6:7]
	v_mul_f64 v[104:105], v[72:73], s[18:19]
	;; [unrolled: 1-line block ×13, first 2 shown]
	v_fma_f64 v[118:119], v[64:65], s[34:35], v[96:97]
	v_fma_f64 v[96:97], v[64:65], s[34:35], -v[96:97]
	v_fma_f64 v[120:121], v[60:61], s[34:35], -v[98:99]
	v_fma_f64 v[98:99], v[60:61], s[34:35], v[98:99]
	v_fma_f64 v[122:123], v[64:65], s[26:27], v[100:101]
	v_fma_f64 v[124:125], v[60:61], s[26:27], -v[102:103]
	v_mul_f64 v[149:150], v[94:95], s[30:31]
	v_fma_f64 v[100:101], v[64:65], s[26:27], -v[100:101]
	v_mul_f64 v[151:152], v[56:57], s[16:17]
	v_fma_f64 v[155:156], v[44:45], s[4:5], v[108:109]
	v_fma_f64 v[108:109], v[44:45], s[4:5], -v[108:109]
	v_fma_f64 v[157:158], v[92:93], s[4:5], -v[110:111]
	v_fma_f64 v[110:111], v[92:93], s[4:5], v[110:111]
	v_mul_f64 v[153:154], v[94:95], s[16:17]
	v_fma_f64 v[159:160], v[44:45], s[14:15], v[104:105]
	v_fma_f64 v[161:162], v[92:93], s[14:15], -v[106:107]
	v_fma_f64 v[104:105], v[44:45], s[14:15], -v[104:105]
	v_fma_f64 v[200:201], v[22:23], s[10:11], v[128:129]
	v_fma_f64 v[128:129], v[22:23], s[10:11], -v[128:129]
	v_fma_f64 v[202:203], v[74:75], s[10:11], -v[147:148]
	v_fma_f64 v[147:148], v[74:75], s[10:11], v[147:148]
	v_fma_f64 v[190:191], v[34:35], s[26:27], v[130:131]
	v_add_f64 v[118:119], v[2:3], v[118:119]
	v_add_f64 v[96:97], v[2:3], v[96:97]
	;; [unrolled: 1-line block ×6, first 2 shown]
	v_fma_f64 v[192:193], v[84:85], s[26:27], -v[149:150]
	v_fma_f64 v[130:131], v[34:35], s[26:27], -v[130:131]
	v_fma_f64 v[149:150], v[84:85], s[26:27], v[149:150]
	v_add_f64 v[100:101], v[2:3], v[100:101]
	v_fma_f64 v[194:195], v[34:35], s[10:11], v[151:152]
	v_fma_f64 v[151:152], v[34:35], s[10:11], -v[151:152]
	v_fma_f64 v[102:103], v[60:61], s[26:27], v[102:103]
	v_fma_f64 v[196:197], v[84:85], s[10:11], -v[153:154]
	v_mul_f64 v[171:172], v[78:79], s[6:7]
	v_fma_f64 v[204:205], v[22:23], s[34:35], v[167:168]
	v_fma_f64 v[206:207], v[74:75], s[34:35], -v[173:174]
	v_mul_f64 v[169:170], v[66:67], s[28:29]
	v_fma_f64 v[167:168], v[22:23], s[34:35], -v[167:168]
	v_fma_f64 v[106:107], v[92:93], s[14:15], v[106:107]
	v_mul_f64 v[132:133], v[66:67], s[18:19]
	v_mul_f64 v[163:164], v[20:21], s[28:29]
	v_add_f64 v[118:119], v[155:156], v[118:119]
	v_add_f64 v[96:97], v[108:109], v[96:97]
	v_add_f64 v[120:121], v[157:158], v[120:121]
	v_add_f64 v[98:99], v[110:111], v[98:99]
	v_add_f64 v[108:109], v[159:160], v[122:123]
	v_add_f64 v[110:111], v[161:162], v[124:125]
	v_mul_f64 v[124:125], v[52:53], s[28:29]
	v_mul_f64 v[159:160], v[76:77], s[28:29]
	;; [unrolled: 1-line block ×3, first 2 shown]
	v_add_f64 v[100:101], v[104:105], v[100:101]
	v_mul_f64 v[157:158], v[68:69], s[38:39]
	v_mul_f64 v[177:178], v[56:57], s[6:7]
	v_add_f64 v[102:103], v[0:1], v[102:103]
	v_mul_f64 v[198:199], v[72:73], s[36:37]
	v_fma_f64 v[208:209], v[16:17], s[4:5], v[165:166]
	v_fma_f64 v[210:211], v[46:47], s[4:5], -v[171:172]
	v_mul_f64 v[155:156], v[94:95], s[6:7]
	v_fma_f64 v[153:154], v[84:85], s[10:11], v[153:154]
	v_add_f64 v[90:91], v[112:113], v[90:91]
	v_add_f64 v[86:87], v[114:115], v[86:87]
	v_mul_f64 v[175:176], v[42:43], s[22:23]
	v_mul_f64 v[161:162], v[56:57], s[40:41]
	v_add_f64 v[104:105], v[190:191], v[118:119]
	v_add_f64 v[96:97], v[130:131], v[96:97]
	;; [unrolled: 1-line block ×6, first 2 shown]
	v_mul_f64 v[120:121], v[52:53], s[22:23]
	v_fma_f64 v[212:213], v[64:65], s[24:25], v[124:125]
	v_fma_f64 v[194:195], v[16:17], s[24:25], v[126:127]
	v_fma_f64 v[196:197], v[46:47], s[24:25], -v[134:135]
	v_fma_f64 v[126:127], v[16:17], s[24:25], -v[126:127]
	v_add_f64 v[100:101], v[151:152], v[100:101]
	v_fma_f64 v[124:125], v[64:65], s[24:25], -v[124:125]
	v_mul_f64 v[190:191], v[76:77], s[22:23]
	v_fma_f64 v[134:135], v[46:47], s[24:25], v[134:135]
	v_fma_f64 v[192:193], v[10:11], s[14:15], v[116:117]
	v_fma_f64 v[116:117], v[10:11], s[14:15], -v[116:117]
	v_add_f64 v[102:103], v[106:107], v[102:103]
	v_mul_f64 v[149:150], v[68:69], s[36:37]
	v_fma_f64 v[151:152], v[10:11], s[24:25], v[163:164]
	v_fma_f64 v[165:166], v[16:17], s[4:5], -v[165:166]
	v_fma_f64 v[114:115], v[34:35], s[4:5], -v[177:178]
	v_add_f64 v[104:105], v[200:201], v[104:105]
	v_add_f64 v[96:97], v[128:129], v[96:97]
	;; [unrolled: 1-line block ×4, first 2 shown]
	v_fma_f64 v[147:148], v[60:61], s[24:25], -v[159:160]
	v_add_f64 v[108:109], v[204:205], v[108:109]
	v_add_f64 v[110:111], v[206:207], v[110:111]
	v_fma_f64 v[202:203], v[44:45], s[26:27], v[122:123]
	v_fma_f64 v[159:160], v[60:61], s[24:25], v[159:160]
	;; [unrolled: 1-line block ×3, first 2 shown]
	v_add_f64 v[206:207], v[2:3], v[212:213]
	v_fma_f64 v[200:201], v[40:41], s[24:25], -v[169:170]
	v_add_f64 v[100:101], v[167:168], v[100:101]
	v_fma_f64 v[167:168], v[40:41], s[24:25], v[169:170]
	v_fma_f64 v[169:170], v[92:93], s[26:27], -v[157:158]
	v_fma_f64 v[122:123], v[44:45], s[26:27], -v[122:123]
	v_add_f64 v[124:125], v[2:3], v[124:125]
	v_fma_f64 v[128:129], v[40:41], s[14:15], -v[132:133]
	v_fma_f64 v[132:133], v[40:41], s[14:15], v[132:133]
	v_fma_f64 v[157:158], v[92:93], s[26:27], v[157:158]
	v_add_f64 v[153:154], v[153:154], v[102:103]
	v_fma_f64 v[120:121], v[64:65], s[14:15], -v[120:121]
	v_add_f64 v[104:105], v[194:195], v[104:105]
	v_fma_f64 v[194:195], v[34:35], s[4:5], v[177:178]
	v_add_f64 v[106:107], v[196:197], v[118:119]
	v_add_f64 v[118:119], v[126:127], v[96:97]
	;; [unrolled: 1-line block ×6, first 2 shown]
	v_fma_f64 v[134:135], v[60:61], s[14:15], -v[190:191]
	v_fma_f64 v[196:197], v[44:45], s[34:35], v[198:199]
	v_add_f64 v[159:160], v[0:1], v[159:160]
	v_add_f64 v[204:205], v[2:3], v[204:205]
	;; [unrolled: 1-line block ×5, first 2 shown]
	v_mul_f64 v[130:131], v[94:95], s[40:41]
	v_add_f64 v[122:123], v[122:123], v[124:125]
	v_fma_f64 v[173:174], v[74:75], s[34:35], v[173:174]
	v_fma_f64 v[208:209], v[92:93], s[34:35], -v[149:150]
	v_add_f64 v[165:166], v[165:166], v[100:101]
	v_mul_f64 v[124:125], v[32:33], s[42:43]
	v_fma_f64 v[86:87], v[22:23], s[14:15], -v[175:176]
	v_add_f64 v[98:99], v[192:193], v[104:105]
	v_fma_f64 v[90:91], v[44:45], s[34:35], -v[198:199]
	v_add_f64 v[96:97], v[128:129], v[106:107]
	v_add_f64 v[102:103], v[116:117], v[118:119]
	v_fma_f64 v[116:117], v[84:85], s[4:5], -v[155:156]
	v_add_f64 v[118:119], v[169:170], v[147:148]
	v_add_f64 v[100:101], v[132:133], v[126:127]
	;; [unrolled: 1-line block ×5, first 2 shown]
	v_mul_f64 v[110:111], v[88:89], s[22:23]
	v_fma_f64 v[126:127], v[22:23], s[14:15], v[175:176]
	v_fma_f64 v[128:129], v[84:85], s[4:5], v[155:156]
	v_add_f64 v[132:133], v[157:158], v[159:160]
	v_mul_f64 v[134:135], v[42:43], s[6:7]
	v_fma_f64 v[147:148], v[34:35], s[24:25], v[161:162]
	v_add_f64 v[151:152], v[196:197], v[204:205]
	v_add_f64 v[155:156], v[194:195], v[202:203]
	;; [unrolled: 1-line block ×3, first 2 shown]
	v_fma_f64 v[122:123], v[60:61], s[14:15], v[190:191]
	v_add_f64 v[70:71], v[82:83], v[70:71]
	v_add_f64 v[62:63], v[80:81], v[62:63]
	v_fma_f64 v[112:113], v[46:47], s[4:5], v[171:172]
	v_add_f64 v[153:154], v[173:174], v[153:154]
	v_mul_f64 v[159:160], v[88:89], s[6:7]
	v_fma_f64 v[169:170], v[84:85], s[24:25], -v[130:131]
	v_mul_f64 v[171:172], v[78:79], s[42:43]
	v_add_f64 v[116:117], v[116:117], v[118:119]
	v_add_f64 v[118:119], v[2:3], v[120:121]
	v_fma_f64 v[120:121], v[16:17], s[34:35], v[124:125]
	v_fma_f64 v[82:83], v[34:35], s[24:25], -v[161:162]
	v_add_f64 v[108:109], v[208:209], v[108:109]
	v_fma_f64 v[173:174], v[74:75], s[14:15], -v[110:111]
	v_fma_f64 v[110:111], v[74:75], s[14:15], v[110:111]
	v_fma_f64 v[80:81], v[16:17], s[34:35], -v[124:125]
	v_add_f64 v[128:129], v[128:129], v[132:133]
	v_mul_f64 v[132:133], v[32:33], s[16:17]
	v_fma_f64 v[175:176], v[22:23], s[4:5], v[134:135]
	v_add_f64 v[147:148], v[147:148], v[151:152]
	v_add_f64 v[126:127], v[126:127], v[155:156]
	;; [unrolled: 1-line block ×3, first 2 shown]
	v_fma_f64 v[114:115], v[92:93], s[34:35], v[149:150]
	v_add_f64 v[54:55], v[70:71], v[54:55]
	v_add_f64 v[50:51], v[62:63], v[50:51]
	v_mul_f64 v[161:162], v[76:77], s[16:17]
	v_add_f64 v[112:113], v[112:113], v[153:154]
	v_mul_f64 v[153:154], v[78:79], s[16:17]
	v_fma_f64 v[155:156], v[74:75], s[4:5], -v[159:160]
	v_mul_f64 v[62:63], v[76:77], s[12:13]
	v_fma_f64 v[70:71], v[22:23], s[4:5], -v[134:135]
	v_add_f64 v[90:91], v[90:91], v[118:119]
	v_add_f64 v[118:119], v[0:1], v[122:123]
	v_fma_f64 v[122:123], v[46:47], s[34:35], v[171:172]
	v_add_f64 v[108:109], v[169:170], v[108:109]
	v_mul_f64 v[169:170], v[66:67], s[20:21]
	v_fma_f64 v[177:178], v[46:47], s[34:35], -v[171:172]
	v_mul_f64 v[134:135], v[68:69], s[28:29]
	v_add_f64 v[110:111], v[110:111], v[128:129]
	v_fma_f64 v[128:129], v[16:17], s[10:11], v[132:133]
	v_mul_f64 v[68:69], v[68:69], s[16:17]
	v_add_f64 v[147:148], v[175:176], v[147:148]
	v_add_f64 v[120:121], v[120:121], v[126:127]
	v_mul_f64 v[126:127], v[52:53], s[16:17]
	v_mul_f64 v[52:53], v[52:53], s[12:13]
	v_add_f64 v[48:49], v[54:55], v[48:49]
	v_add_f64 v[50:51], v[50:51], v[58:59]
	;; [unrolled: 1-line block ×3, first 2 shown]
	v_fma_f64 v[58:59], v[16:17], s[10:11], -v[132:133]
	v_fma_f64 v[171:172], v[46:47], s[10:11], -v[153:154]
	v_mul_f64 v[132:133], v[56:57], s[36:37]
	v_fma_f64 v[54:55], v[60:61], s[4:5], v[62:63]
	v_mul_f64 v[56:57], v[56:57], s[22:23]
	v_add_f64 v[76:77], v[82:83], v[90:91]
	v_fma_f64 v[90:91], v[84:85], s[24:25], v[130:131]
	v_add_f64 v[114:115], v[114:115], v[118:119]
	v_add_f64 v[108:109], v[155:156], v[108:109]
	v_fma_f64 v[155:156], v[40:41], s[10:11], -v[169:170]
	v_fma_f64 v[86:87], v[40:41], s[10:11], v[169:170]
	v_mul_f64 v[157:158], v[20:21], s[20:21]
	v_add_f64 v[110:111], v[122:123], v[110:111]
	v_mul_f64 v[124:125], v[20:21], s[30:31]
	v_mul_f64 v[149:150], v[66:67], s[30:31]
	v_add_f64 v[122:123], v[128:129], v[147:148]
	v_mul_f64 v[128:129], v[72:73], s[28:29]
	v_fma_f64 v[130:131], v[64:65], s[10:11], -v[126:127]
	v_fma_f64 v[147:148], v[60:61], s[10:11], v[161:162]
	v_mul_f64 v[72:73], v[72:73], s[16:17]
	v_fma_f64 v[169:170], v[64:65], s[4:5], -v[52:53]
	v_fma_f64 v[52:53], v[64:65], s[4:5], v[52:53]
	v_add_f64 v[38:39], v[48:49], v[38:39]
	v_add_f64 v[36:37], v[50:51], v[36:37]
	v_mul_f64 v[50:51], v[42:43], s[38:39]
	v_add_f64 v[48:49], v[0:1], v[54:55]
	v_mul_f64 v[42:43], v[42:43], s[28:29]
	v_add_f64 v[70:71], v[70:71], v[76:77]
	v_fma_f64 v[76:77], v[64:65], s[10:11], v[126:127]
	v_add_f64 v[90:91], v[90:91], v[114:115]
	v_fma_f64 v[114:115], v[60:61], s[10:11], -v[161:162]
	v_fma_f64 v[60:61], v[60:61], s[4:5], -v[62:63]
	v_add_f64 v[108:109], v[171:172], v[108:109]
	v_fma_f64 v[126:127], v[74:75], s[4:5], v[159:160]
	v_mul_f64 v[64:65], v[94:95], s[36:37]
	v_fma_f64 v[159:160], v[92:93], s[24:25], v[134:135]
	v_mul_f64 v[94:95], v[94:95], s[22:23]
	v_fma_f64 v[171:172], v[92:93], s[10:11], v[68:69]
	v_fma_f64 v[62:63], v[44:45], s[24:25], -v[128:129]
	v_add_f64 v[130:131], v[2:3], v[130:131]
	v_add_f64 v[147:148], v[0:1], v[147:148]
	v_fma_f64 v[161:162], v[44:45], s[10:11], -v[72:73]
	v_add_f64 v[169:170], v[2:3], v[169:170]
	v_fma_f64 v[54:55], v[44:45], s[24:25], v[128:129]
	v_fma_f64 v[134:135], v[92:93], s[24:25], -v[134:135]
	v_fma_f64 v[44:45], v[44:45], s[10:11], v[72:73]
	v_add_f64 v[30:31], v[38:39], v[30:31]
	v_add_f64 v[28:29], v[36:37], v[28:29]
	v_mul_f64 v[128:129], v[88:89], s[38:39]
	v_mul_f64 v[88:89], v[88:89], s[28:29]
	v_add_f64 v[76:77], v[2:3], v[76:77]
	v_add_f64 v[2:3], v[2:3], v[52:53]
	;; [unrolled: 1-line block ×3, first 2 shown]
	v_fma_f64 v[52:53], v[92:93], s[10:11], -v[68:69]
	v_add_f64 v[0:1], v[0:1], v[60:61]
	v_fma_f64 v[60:61], v[34:35], s[34:35], -v[132:133]
	v_fma_f64 v[68:69], v[84:85], s[34:35], v[64:65]
	v_fma_f64 v[92:93], v[34:35], s[14:15], -v[56:57]
	v_fma_f64 v[64:65], v[84:85], s[34:35], -v[64:65]
	v_add_f64 v[36:37], v[171:172], v[48:49]
	v_fma_f64 v[48:49], v[34:35], s[34:35], v[132:133]
	v_add_f64 v[62:63], v[62:63], v[130:131]
	v_add_f64 v[72:73], v[159:160], v[147:148]
	v_fma_f64 v[147:148], v[84:85], s[14:15], v[94:95]
	v_add_f64 v[130:131], v[161:162], v[169:170]
	v_fma_f64 v[34:35], v[34:35], s[14:15], v[56:57]
	v_mul_f64 v[38:39], v[32:33], s[18:19]
	v_mul_f64 v[32:33], v[32:33], s[30:31]
	v_add_f64 v[26:27], v[30:31], v[26:27]
	v_add_f64 v[24:25], v[28:29], v[24:25]
	v_mul_f64 v[30:31], v[20:21], s[6:7]
	v_mul_f64 v[20:21], v[20:21], s[36:37]
	v_add_f64 v[54:55], v[54:55], v[76:77]
	v_add_f64 v[2:3], v[44:45], v[2:3]
	;; [unrolled: 1-line block ×3, first 2 shown]
	v_fma_f64 v[44:45], v[84:85], s[14:15], -v[94:95]
	v_add_f64 v[0:1], v[52:53], v[0:1]
	v_mul_f64 v[76:77], v[78:79], s[18:19]
	v_fma_f64 v[52:53], v[22:23], s[26:27], -v[50:51]
	v_fma_f64 v[84:85], v[74:75], s[24:25], v[88:89]
	v_add_f64 v[116:117], v[173:174], v[116:117]
	v_fma_f64 v[82:83], v[10:11], s[10:11], -v[157:158]
	v_fma_f64 v[163:164], v[10:11], s[24:25], -v[163:164]
	v_add_f64 v[56:57], v[60:61], v[62:63]
	v_fma_f64 v[60:61], v[74:75], s[26:27], v[128:129]
	v_add_f64 v[62:63], v[68:69], v[72:73]
	v_mul_f64 v[68:69], v[78:79], s[30:31]
	v_fma_f64 v[72:73], v[22:23], s[24:25], -v[42:43]
	v_add_f64 v[78:79], v[92:93], v[130:131]
	v_add_f64 v[28:29], v[147:148], v[36:37]
	v_fma_f64 v[36:37], v[22:23], s[26:27], v[50:51]
	v_fma_f64 v[22:23], v[22:23], s[24:25], v[42:43]
	v_add_f64 v[18:19], v[26:27], v[18:19]
	v_add_f64 v[8:9], v[24:25], v[8:9]
	v_add_f64 v[48:49], v[48:49], v[54:55]
	v_fma_f64 v[54:55], v[74:75], s[26:27], -v[128:129]
	v_add_f64 v[64:65], v[64:65], v[114:115]
	v_add_f64 v[2:3], v[34:35], v[2:3]
	v_fma_f64 v[34:35], v[74:75], s[24:25], -v[88:89]
	v_add_f64 v[0:1], v[44:45], v[0:1]
	v_mul_f64 v[50:51], v[66:67], s[6:7]
	v_fma_f64 v[42:43], v[16:17], s[14:15], -v[38:39]
	v_fma_f64 v[26:27], v[46:47], s[10:11], v[153:154]
	v_fma_f64 v[38:39], v[16:17], s[14:15], v[38:39]
	;; [unrolled: 1-line block ×3, first 2 shown]
	v_add_f64 v[44:45], v[52:53], v[56:57]
	v_fma_f64 v[52:53], v[46:47], s[14:15], v[76:77]
	v_add_f64 v[56:57], v[60:61], v[62:63]
	v_mul_f64 v[60:61], v[66:67], s[36:37]
	v_fma_f64 v[62:63], v[16:17], s[26:27], -v[32:33]
	v_add_f64 v[66:67], v[72:73], v[78:79]
	v_fma_f64 v[72:73], v[46:47], s[26:27], v[68:69]
	v_add_f64 v[24:25], v[84:85], v[28:29]
	v_add_f64 v[28:29], v[126:127], v[90:91]
	v_fma_f64 v[16:17], v[16:17], s[26:27], v[32:33]
	v_add_f64 v[8:9], v[8:9], v[4:5]
	v_add_f64 v[36:37], v[36:37], v[48:49]
	v_fma_f64 v[48:49], v[46:47], s[14:15], -v[76:77]
	v_add_f64 v[54:55], v[54:55], v[64:65]
	v_add_f64 v[2:3], v[22:23], v[2:3]
	v_fma_f64 v[22:23], v[46:47], s[26:27], -v[68:69]
	v_add_f64 v[0:1], v[34:35], v[0:1]
	v_add_f64 v[64:65], v[18:19], v[6:7]
	;; [unrolled: 1-line block ×3, first 2 shown]
	v_fma_f64 v[46:47], v[10:11], s[4:5], -v[30:31]
	v_fma_f64 v[32:33], v[10:11], s[26:27], -v[124:125]
	v_fma_f64 v[68:69], v[40:41], s[26:27], v[149:150]
	v_add_f64 v[42:43], v[42:43], v[44:45]
	v_fma_f64 v[44:45], v[40:41], s[4:5], v[50:51]
	v_add_f64 v[52:53], v[52:53], v[56:57]
	v_fma_f64 v[56:57], v[10:11], s[34:35], -v[20:21]
	v_add_f64 v[116:117], v[177:178], v[116:117]
	v_add_f64 v[58:59], v[62:63], v[66:67]
	v_fma_f64 v[62:63], v[40:41], s[34:35], v[60:61]
	v_add_f64 v[66:67], v[72:73], v[24:25]
	v_add_f64 v[70:71], v[26:27], v[28:29]
	v_fma_f64 v[118:119], v[10:11], s[26:27], v[124:125]
	v_fma_f64 v[157:158], v[40:41], s[26:27], -v[149:150]
	v_fma_f64 v[72:73], v[10:11], s[4:5], v[30:31]
	v_add_f64 v[36:37], v[38:39], v[36:37]
	v_fma_f64 v[38:39], v[40:41], s[4:5], -v[50:51]
	v_add_f64 v[48:49], v[48:49], v[54:55]
	v_fma_f64 v[50:51], v[10:11], s[34:35], v[20:21]
	v_add_f64 v[54:55], v[16:17], v[2:3]
	v_fma_f64 v[60:61], v[40:41], s[34:35], -v[60:61]
	v_add_f64 v[74:75], v[22:23], v[0:1]
	v_add_f64 v[28:29], v[64:65], v[14:15]
	;; [unrolled: 1-line block ×3, first 2 shown]
	v_lshrrev_b32_e32 v12, 2, v188
	v_add_f64 v[20:21], v[46:47], v[42:43]
	v_add_f64 v[16:17], v[32:33], v[34:35]
	;; [unrolled: 1-line block ×10, first 2 shown]
	v_mul_u32_u24_e32 v12, 52, v12
	v_add_f64 v[6:7], v[151:152], v[120:121]
	v_add_f64 v[4:5], v[155:156], v[116:117]
	;; [unrolled: 1-line block ×8, first 2 shown]
	v_or_b32_e32 v12, v12, v189
	v_lshl_add_u32 v12, v12, 4, 0
	ds_write_b128 v12, v[26:29]
	ds_write_b128 v12, v[22:25] offset:64
	ds_write_b128 v12, v[18:21] offset:128
	;; [unrolled: 1-line block ×12, first 2 shown]
.LBB0_21:
	s_or_b32 exec_lo, exec_lo, s1
	v_and_b32_e32 v0, 0xff, v141
	v_add_co_u32 v108, s0, s8, v144
	v_and_b32_e32 v1, 0xff, v184
	v_mov_b32_e32 v24, 0x4ec5
	v_add_co_ci_u32_e64 v109, s0, s9, v145, s0
	v_mul_lo_u16 v0, 0x4f, v0
	v_mul_lo_u16 v1, 0x4f, v1
	s_waitcnt lgkmcnt(0)
	s_barrier
	buffer_gl0_inv
	v_mul_u32_u24_sdwa v118, v137, v24 dst_sel:DWORD dst_unused:UNUSED_PAD src0_sel:WORD_0 src1_sel:DWORD
	global_load_dwordx4 v[12:15], v[108:109], off offset:800
	v_mul_u32_u24_sdwa v117, v180, v24 dst_sel:DWORD dst_unused:UNUSED_PAD src0_sel:WORD_0 src1_sel:DWORD
	v_lshrrev_b16 v0, 12, v0
	v_mul_u32_u24_sdwa v115, v181, v24 dst_sel:DWORD dst_unused:UNUSED_PAD src0_sel:WORD_0 src1_sel:DWORD
	v_mul_u32_u24_sdwa v116, v182, v24 dst_sel:DWORD dst_unused:UNUSED_PAD src0_sel:WORD_0 src1_sel:DWORD
	;; [unrolled: 1-line block ×3, first 2 shown]
	v_lshrrev_b16 v1, 12, v1
	v_lshrrev_b32_e32 v2, 20, v118
	v_lshrrev_b32_e32 v3, 20, v117
	v_mul_u32_u24_sdwa v27, v185, v24 dst_sel:DWORD dst_unused:UNUSED_PAD src0_sel:WORD_0 src1_sel:DWORD
	v_mul_lo_u16 v0, v0, 52
	v_lshrrev_b32_e32 v4, 20, v115
	v_lshrrev_b32_e32 v28, 20, v116
	v_mul_u32_u24_sdwa v29, v186, v24 dst_sel:DWORD dst_unused:UNUSED_PAD src0_sel:WORD_0 src1_sel:DWORD
	v_lshrrev_b32_e32 v26, 20, v26
	v_mul_u32_u24_sdwa v24, v187, v24 dst_sel:DWORD dst_unused:UNUSED_PAD src0_sel:WORD_0 src1_sel:DWORD
	v_mul_lo_u16 v1, v1, 52
	v_mul_lo_u16 v2, v2, 52
	;; [unrolled: 1-line block ×3, first 2 shown]
	v_lshrrev_b32_e32 v27, 20, v27
	v_sub_nc_u16 v0, v141, v0
	v_mov_b32_e32 v25, 4
	v_mul_lo_u16 v4, v4, 52
	v_mul_lo_u16 v28, v28, 52
	v_lshrrev_b32_e32 v29, 20, v29
	v_mul_lo_u16 v26, v26, 52
	v_lshrrev_b32_e32 v24, 20, v24
	v_sub_nc_u16 v1, v184, v1
	v_sub_nc_u16 v2, v137, v2
	v_sub_nc_u16 v5, v180, v3
	v_mul_lo_u16 v27, v27, 52
	v_lshlrev_b32_sdwa v110, v25, v0 dst_sel:DWORD dst_unused:UNUSED_PAD src0_sel:DWORD src1_sel:BYTE_0
	v_sub_nc_u16 v4, v181, v4
	v_sub_nc_u16 v28, v182, v28
	v_mul_lo_u16 v29, v29, 52
	v_sub_nc_u16 v26, v183, v26
	v_mul_lo_u16 v24, v24, 52
	v_lshlrev_b32_sdwa v111, v25, v1 dst_sel:DWORD dst_unused:UNUSED_PAD src0_sel:DWORD src1_sel:BYTE_0
	v_lshlrev_b32_sdwa v112, v25, v2 dst_sel:DWORD dst_unused:UNUSED_PAD src0_sel:DWORD src1_sel:WORD_0
	global_load_dwordx4 v[0:3], v110, s[8:9] offset:800
	v_lshlrev_b32_sdwa v113, v25, v5 dst_sel:DWORD dst_unused:UNUSED_PAD src0_sel:DWORD src1_sel:WORD_0
	v_sub_nc_u16 v27, v185, v27
	v_lshlrev_b32_sdwa v114, v25, v4 dst_sel:DWORD dst_unused:UNUSED_PAD src0_sel:DWORD src1_sel:WORD_0
	v_lshlrev_b32_sdwa v119, v25, v28 dst_sel:DWORD dst_unused:UNUSED_PAD src0_sel:DWORD src1_sel:WORD_0
	v_sub_nc_u16 v28, v186, v29
	v_lshlrev_b32_sdwa v120, v25, v26 dst_sel:DWORD dst_unused:UNUSED_PAD src0_sel:DWORD src1_sel:WORD_0
	v_sub_nc_u16 v24, v187, v24
	s_clause 0x3
	global_load_dwordx4 v[8:11], v111, s[8:9] offset:800
	global_load_dwordx4 v[4:7], v112, s[8:9] offset:800
	;; [unrolled: 1-line block ×4, first 2 shown]
	v_lshlrev_b32_sdwa v121, v25, v27 dst_sel:DWORD dst_unused:UNUSED_PAD src0_sel:DWORD src1_sel:WORD_0
	s_clause 0x1
	global_load_dwordx4 v[64:67], v119, s[8:9] offset:800
	global_load_dwordx4 v[68:71], v120, s[8:9] offset:800
	v_lshlrev_b32_sdwa v122, v25, v28 dst_sel:DWORD dst_unused:UNUSED_PAD src0_sel:DWORD src1_sel:WORD_0
	v_lshlrev_b32_sdwa v123, v25, v24 dst_sel:DWORD dst_unused:UNUSED_PAD src0_sel:DWORD src1_sel:WORD_0
	s_clause 0x2
	global_load_dwordx4 v[72:75], v121, s[8:9] offset:800
	global_load_dwordx4 v[60:63], v122, s[8:9] offset:800
	;; [unrolled: 1-line block ×3, first 2 shown]
	v_mov_b32_e32 v141, 0
	ds_read_b128 v[52:55], v179
	ds_read_b128 v[48:51], v179 offset:832
	ds_read_b128 v[104:107], v179 offset:9984
	;; [unrolled: 1-line block ×15, first 2 shown]
	v_lshrrev_b32_e32 v118, 21, v118
	v_lshrrev_b32_e32 v178, 21, v115
	;; [unrolled: 1-line block ×3, first 2 shown]
	v_lshlrev_b64 v[144:145], 4, v[140:141]
	v_lshrrev_b32_e32 v140, 21, v117
	v_mul_lo_u16 v184, 0x68, v118
	ds_read_b128 v[124:127], v179 offset:6656
	ds_read_b128 v[128:131], v179 offset:7488
	;; [unrolled: 1-line block ×8, first 2 shown]
	v_add_nc_u32_e32 v185, 0, v110
	v_add_co_u32 v115, s0, s8, v144
	v_add_co_ci_u32_e64 v116, s0, s9, v145, s0
	v_add_nc_u32_e32 v186, 0, v111
	v_add_nc_u32_e32 v187, 0, v112
	;; [unrolled: 1-line block ×7, first 2 shown]
	v_mov_b32_e32 v147, v141
	s_waitcnt vmcnt(0) lgkmcnt(0)
	s_barrier
	buffer_gl0_inv
	v_mul_lo_u16 v140, 0x68, v140
	v_lshlrev_b64 v[146:147], 4, v[146:147]
	v_add_nc_u32_e32 v114, 0, v114
	v_add_nc_u32_e32 v123, 0, v123
	s_mov_b32 s4, 0xe8584caa
	s_mov_b32 s5, 0xbfebb67a
	;; [unrolled: 1-line block ×3, first 2 shown]
	v_add_co_u32 v146, s0, s8, v146
	v_add_co_ci_u32_e64 v147, s0, s9, v147, s0
	s_mov_b32 s6, s4
	v_mul_f64 v[117:118], v[106:107], v[14:15]
	v_mul_f64 v[144:145], v[104:105], v[14:15]
	;; [unrolled: 1-line block ×4, first 2 shown]
	v_fma_f64 v[104:105], v[104:105], v[12:13], v[117:118]
	v_fma_f64 v[106:107], v[106:107], v[12:13], -v[144:145]
	v_fma_f64 v[100:101], v[100:101], v[12:13], v[168:169]
	v_fma_f64 v[14:15], v[102:103], v[12:13], -v[14:15]
	v_mul_f64 v[110:111], v[90:91], v[2:3]
	v_mul_f64 v[2:3], v[88:89], v[2:3]
	v_add_f64 v[12:13], v[54:55], -v[106:107]
	v_mul_f64 v[112:113], v[78:79], v[10:11]
	v_mul_f64 v[117:118], v[76:77], v[10:11]
	;; [unrolled: 1-line block ×18, first 2 shown]
	v_add_f64 v[102:103], v[50:51], -v[14:15]
	v_fma_f64 v[14:15], v[88:89], v[0:1], v[110:111]
	v_fma_f64 v[88:89], v[90:91], v[0:1], -v[2:3]
	v_add_f64 v[100:101], v[48:49], -v[100:101]
	v_fma_f64 v[76:77], v[76:77], v[8:9], v[112:113]
	v_fma_f64 v[8:9], v[78:79], v[8:9], -v[117:118]
	v_fma_f64 v[78:79], v[92:93], v[4:5], v[119:120]
	v_fma_f64 v[90:91], v[94:95], v[4:5], -v[6:7]
	v_add_f64 v[10:11], v[52:53], -v[104:105]
	v_fma_f64 v[80:81], v[80:81], v[20:21], v[121:122]
	v_fma_f64 v[22:23], v[82:83], v[20:21], -v[22:23]
	v_fma_f64 v[82:83], v[96:97], v[16:17], v[144:145]
	v_fma_f64 v[92:93], v[98:99], v[16:17], -v[18:19]
	;; [unrolled: 2-line block ×7, first 2 shown]
	v_add_f64 v[14:15], v[36:37], -v[14:15]
	v_add_f64 v[16:17], v[38:39], -v[88:89]
	v_fma_f64 v[4:5], v[48:49], 2.0, -v[100:101]
	v_add_f64 v[18:19], v[24:25], -v[76:77]
	v_add_f64 v[20:21], v[26:27], -v[8:9]
	v_fma_f64 v[6:7], v[50:51], 2.0, -v[102:103]
	;; [unrolled: 3-line block ×3, first 2 shown]
	v_fma_f64 v[2:3], v[54:55], 2.0, -v[12:13]
	v_add_f64 v[52:53], v[28:29], -v[80:81]
	v_add_f64 v[54:55], v[30:31], -v[22:23]
	;; [unrolled: 1-line block ×14, first 2 shown]
	ds_write_b128 v179, v[10:13] offset:832
	ds_write_b128 v179, v[100:103] offset:2496
	v_fma_f64 v[8:9], v[36:37], 2.0, -v[14:15]
	v_fma_f64 v[10:11], v[38:39], 2.0, -v[16:17]
	;; [unrolled: 1-line block ×20, first 2 shown]
	ds_write_b128 v179, v[0:3]
	ds_write_b128 v179, v[4:7] offset:1664
	ds_write_b128 v185, v[14:17] offset:4160
	ds_write_b128 v186, v[18:21] offset:5824
	ds_write_b128 v187, v[48:51] offset:7488
	ds_write_b128 v188, v[52:55] offset:9152
	ds_write_b128 v114, v[56:59] offset:10816
	ds_write_b128 v189, v[60:63] offset:12480
	ds_write_b128 v190, v[64:67] offset:14144
	ds_write_b128 v191, v[68:71] offset:15808
	ds_write_b128 v192, v[72:75] offset:17472
	ds_write_b128 v123, v[76:79] offset:19136
	ds_write_b128 v185, v[8:11] offset:3328
	ds_write_b128 v186, v[22:25] offset:4992
	ds_write_b128 v187, v[36:39] offset:6656
	ds_write_b128 v188, v[26:29] offset:8320
	ds_write_b128 v114, v[40:43] offset:9984
	ds_write_b128 v189, v[30:33] offset:11648
	ds_write_b128 v190, v[44:47] offset:13312
	ds_write_b128 v191, v[80:83] offset:14976
	ds_write_b128 v192, v[84:87] offset:16640
	ds_write_b128 v123, v[88:91] offset:18304
	v_sub_nc_u16 v16, v137, v184
	v_mul_lo_u16 v17, 0x68, v178
	v_sub_nc_u16 v18, v180, v140
	s_waitcnt lgkmcnt(0)
	s_barrier
	v_and_b32_e32 v50, 0xffff, v16
	v_mul_lo_u16 v16, 0x68, v183
	buffer_gl0_inv
	s_clause 0x3
	global_load_dwordx4 v[0:3], v[115:116], off offset:1648
	global_load_dwordx4 v[8:11], v[115:116], off offset:1632
	;; [unrolled: 1-line block ×4, first 2 shown]
	v_sub_nc_u16 v17, v181, v17
	v_and_b32_e32 v51, 0xffff, v18
	v_lshlrev_b32_e32 v18, 5, v50
	v_sub_nc_u16 v16, v182, v16
	s_clause 0x1
	global_load_dwordx4 v[32:35], v18, s[8:9] offset:1632
	global_load_dwordx4 v[20:23], v18, s[8:9] offset:1648
	v_and_b32_e32 v52, 0xffff, v17
	v_lshlrev_b32_e32 v17, 5, v51
	v_and_b32_e32 v53, 0xffff, v16
	s_clause 0x1
	global_load_dwordx4 v[36:39], v17, s[8:9] offset:1632
	global_load_dwordx4 v[24:27], v17, s[8:9] offset:1648
	v_lshlrev_b32_e32 v16, 5, v52
	v_lshlrev_b32_e32 v40, 5, v53
	s_clause 0x3
	global_load_dwordx4 v[28:31], v16, s[8:9] offset:1632
	global_load_dwordx4 v[16:19], v16, s[8:9] offset:1648
	;; [unrolled: 1-line block ×4, first 2 shown]
	v_add_co_u32 v48, s0, s8, v142
	v_add_co_ci_u32_e64 v49, s0, s9, v143, s0
	v_lshl_add_u32 v137, v50, 4, 0
	v_lshl_add_u32 v140, v51, 4, 0
	;; [unrolled: 1-line block ×4, first 2 shown]
	ds_read_b128 v[50:53], v179
	ds_read_b128 v[54:57], v179 offset:832
	ds_read_b128 v[58:61], v179 offset:6656
	;; [unrolled: 1-line block ×23, first 2 shown]
	v_add_co_u32 v106, s0, 0x1000, v108
	v_add_co_ci_u32_e64 v107, s0, 0, v109, s0
	v_add_co_u32 v134, s0, 0x1000, v48
	v_add_co_ci_u32_e64 v135, s0, 0, v49, s0
	;; [unrolled: 2-line block ×3, first 2 shown]
	s_waitcnt vmcnt(0) lgkmcnt(0)
	s_barrier
	buffer_gl0_inv
	v_mul_f64 v[164:165], v[68:69], v[2:3]
	v_mul_f64 v[160:161], v[60:61], v[10:11]
	;; [unrolled: 1-line block ×32, first 2 shown]
	v_fma_f64 v[58:59], v[58:59], v[8:9], v[160:161]
	v_fma_f64 v[60:61], v[60:61], v[8:9], -v[162:163]
	v_fma_f64 v[66:67], v[66:67], v[0:1], v[164:165]
	v_fma_f64 v[68:69], v[68:69], v[0:1], -v[166:167]
	;; [unrolled: 2-line block ×16, first 2 shown]
	v_add_f64 v[42:43], v[50:51], v[58:59]
	v_add_f64 v[46:47], v[58:59], v[66:67]
	v_add_f64 v[86:87], v[60:61], -v[68:69]
	v_add_f64 v[88:89], v[52:53], v[60:61]
	v_add_f64 v[60:61], v[60:61], v[68:69]
	;; [unrolled: 1-line block ×3, first 2 shown]
	v_add_f64 v[94:95], v[64:65], -v[72:73]
	v_add_f64 v[96:97], v[56:57], v[64:65]
	v_add_f64 v[64:65], v[64:65], v[72:73]
	;; [unrolled: 1-line block ×9, first 2 shown]
	v_add_f64 v[166:167], v[34:35], -v[24:25]
	v_add_f64 v[168:169], v[104:105], v[34:35]
	v_add_f64 v[34:35], v[34:35], v[24:25]
	;; [unrolled: 1-line block ×5, first 2 shown]
	v_add_f64 v[176:177], v[28:29], -v[38:39]
	v_add_f64 v[180:181], v[128:129], v[28:29]
	v_add_f64 v[28:29], v[28:29], v[38:39]
	;; [unrolled: 1-line block ×7, first 2 shown]
	v_add_f64 v[58:59], v[58:59], -v[66:67]
	v_add_f64 v[146:147], v[0:1], -v[12:13]
	v_add_f64 v[148:149], v[98:99], v[4:5]
	v_add_f64 v[0:1], v[42:43], v[66:67]
	v_fma_f64 v[42:43], v[46:47], -0.5, v[50:51]
	v_fma_f64 v[46:47], v[60:61], -0.5, v[52:53]
	v_add_f64 v[154:155], v[100:101], v[6:7]
	v_add_f64 v[162:163], v[102:103], v[22:23]
	v_add_f64 v[62:63], v[62:63], -v[70:71]
	v_add_f64 v[172:173], v[126:127], v[26:27]
	v_add_f64 v[190:191], v[132:133], v[18:19]
	v_fma_f64 v[50:51], v[92:93], -0.5, v[54:55]
	v_fma_f64 v[52:53], v[64:65], -0.5, v[56:57]
	v_add_f64 v[184:185], v[130:131], v[16:17]
	v_add_f64 v[114:115], v[8:9], -v[84:85]
	v_add_f64 v[82:83], v[82:83], -v[10:11]
	v_fma_f64 v[54:55], v[112:113], -0.5, v[74:75]
	v_fma_f64 v[56:57], v[118:119], -0.5, v[76:77]
	v_add_f64 v[124:125], v[2:3], -v[14:15]
	v_fma_f64 v[60:61], v[122:123], -0.5, v[78:79]
	v_fma_f64 v[64:65], v[144:145], -0.5, v[80:81]
	v_add_f64 v[152:153], v[6:7], -v[20:21]
	v_add_f64 v[160:161], v[4:5], -v[32:33]
	v_add_f64 v[2:3], v[88:89], v[68:69]
	v_add_f64 v[6:7], v[96:97], v[72:73]
	v_fma_f64 v[68:69], v[150:151], -0.5, v[98:99]
	v_fma_f64 v[72:73], v[156:157], -0.5, v[100:101]
	v_add_f64 v[170:171], v[22:23], -v[36:37]
	v_fma_f64 v[76:77], v[164:165], -0.5, v[102:103]
	v_fma_f64 v[80:81], v[34:35], -0.5, v[104:105]
	v_add_f64 v[182:183], v[26:27], -v[30:31]
	v_add_f64 v[8:9], v[110:111], v[10:11]
	v_add_f64 v[10:11], v[116:117], v[84:85]
	v_fma_f64 v[84:85], v[174:175], -0.5, v[126:127]
	v_fma_f64 v[88:89], v[28:29], -0.5, v[128:129]
	v_add_f64 v[188:189], v[18:19], -v[40:41]
	v_add_f64 v[194:195], v[16:17], -v[44:45]
	v_fma_f64 v[92:93], v[186:187], -0.5, v[130:131]
	v_fma_f64 v[96:97], v[192:193], -0.5, v[132:133]
	v_add_f64 v[4:5], v[90:91], v[70:71]
	v_add_f64 v[12:13], v[120:121], v[12:13]
	v_add_f64 v[14:15], v[142:143], v[14:15]
	v_add_f64 v[16:17], v[148:149], v[32:33]
	v_fma_f64 v[32:33], v[86:87], s[4:5], v[42:43]
	v_fma_f64 v[34:35], v[58:59], s[6:7], v[46:47]
	v_add_f64 v[18:19], v[154:155], v[20:21]
	v_add_f64 v[20:21], v[162:163], v[36:37]
	;; [unrolled: 1-line block ×3, first 2 shown]
	v_fma_f64 v[36:37], v[86:87], s[6:7], v[42:43]
	v_fma_f64 v[38:39], v[58:59], s[4:5], v[46:47]
	v_add_f64 v[22:23], v[168:169], v[24:25]
	v_add_f64 v[24:25], v[172:173], v[30:31]
	;; [unrolled: 1-line block ×3, first 2 shown]
	v_fma_f64 v[40:41], v[94:95], s[4:5], v[50:51]
	v_fma_f64 v[42:43], v[62:63], s[6:7], v[52:53]
	v_add_f64 v[28:29], v[184:185], v[44:45]
	v_fma_f64 v[44:45], v[94:95], s[6:7], v[50:51]
	v_fma_f64 v[46:47], v[62:63], s[4:5], v[52:53]
	v_fma_f64 v[50:51], v[114:115], s[4:5], v[54:55]
	v_fma_f64 v[52:53], v[82:83], s[6:7], v[56:57]
	v_fma_f64 v[54:55], v[114:115], s[6:7], v[54:55]
	v_fma_f64 v[56:57], v[82:83], s[4:5], v[56:57]
	v_fma_f64 v[58:59], v[124:125], s[4:5], v[60:61]
	v_fma_f64 v[62:63], v[124:125], s[6:7], v[60:61]
	v_fma_f64 v[60:61], v[146:147], s[6:7], v[64:65]
	v_fma_f64 v[64:65], v[146:147], s[4:5], v[64:65]
	v_fma_f64 v[66:67], v[152:153], s[4:5], v[68:69]
	v_fma_f64 v[70:71], v[152:153], s[6:7], v[68:69]
	v_fma_f64 v[68:69], v[160:161], s[6:7], v[72:73]
	v_fma_f64 v[72:73], v[160:161], s[4:5], v[72:73]
	v_fma_f64 v[74:75], v[166:167], s[4:5], v[76:77]
	v_fma_f64 v[78:79], v[166:167], s[6:7], v[76:77]
	v_fma_f64 v[76:77], v[170:171], s[6:7], v[80:81]
	v_fma_f64 v[80:81], v[170:171], s[4:5], v[80:81]
	v_fma_f64 v[82:83], v[176:177], s[4:5], v[84:85]
	v_fma_f64 v[86:87], v[176:177], s[6:7], v[84:85]
	v_fma_f64 v[84:85], v[182:183], s[6:7], v[88:89]
	v_fma_f64 v[88:89], v[182:183], s[4:5], v[88:89]
	v_fma_f64 v[90:91], v[188:189], s[4:5], v[92:93]
	v_fma_f64 v[94:95], v[188:189], s[6:7], v[92:93]
	v_fma_f64 v[92:93], v[194:195], s[6:7], v[96:97]
	v_fma_f64 v[96:97], v[194:195], s[4:5], v[96:97]
	ds_write_b128 v179, v[0:3]
	ds_write_b128 v179, v[4:7] offset:832
	ds_write_b128 v179, v[8:11] offset:4992
	ds_write_b128 v179, v[12:15] offset:5824
	ds_write_b128 v179, v[32:35] offset:1664
	ds_write_b128 v179, v[36:39] offset:3328
	ds_write_b128 v179, v[40:43] offset:2496
	ds_write_b128 v179, v[44:47] offset:4160
	ds_write_b128 v179, v[50:53] offset:6656
	ds_write_b128 v179, v[54:57] offset:8320
	ds_write_b128 v179, v[58:61] offset:7488
	ds_write_b128 v179, v[62:65] offset:9152
	ds_write_b128 v137, v[16:19] offset:9984
	ds_write_b128 v137, v[66:69] offset:11648
	ds_write_b128 v137, v[70:73] offset:13312
	ds_write_b128 v140, v[20:23] offset:9984
	ds_write_b128 v140, v[74:77] offset:11648
	ds_write_b128 v140, v[78:81] offset:13312
	ds_write_b128 v178, v[24:27] offset:14976
	ds_write_b128 v178, v[82:85] offset:16640
	ds_write_b128 v178, v[86:89] offset:18304
	ds_write_b128 v202, v[28:31] offset:14976
	ds_write_b128 v202, v[90:93] offset:16640
	ds_write_b128 v202, v[94:97] offset:18304
	v_add_co_u32 v20, s0, 0x2000, v48
	s_waitcnt lgkmcnt(0)
	s_barrier
	buffer_gl0_inv
	s_clause 0x1
	global_load_dwordx4 v[4:7], v[106:107], off offset:864
	global_load_dwordx4 v[0:3], v[134:135], off offset:1696
	v_add_co_ci_u32_e64 v21, s0, 0, v49, s0
	s_clause 0x3
	global_load_dwordx4 v[12:15], v[158:159], off offset:480
	global_load_dwordx4 v[8:11], v[158:159], off offset:1312
	;; [unrolled: 1-line block ×4, first 2 shown]
	v_add_co_u32 v122, s0, 0x2000, v108
	v_add_co_ci_u32_e64 v123, s0, 0, v109, s0
	ds_read_b128 v[24:27], v179
	ds_read_b128 v[28:31], v179 offset:832
	ds_read_b128 v[32:35], v179 offset:9984
	;; [unrolled: 1-line block ×23, first 2 shown]
	v_add_co_u32 v124, s0, 0x2800, v48
	v_add_co_ci_u32_e64 v125, s0, 0, v49, s0
	v_add_co_u32 v126, s0, 0x3000, v48
	v_add_co_ci_u32_e64 v127, s0, 0, v49, s0
	;; [unrolled: 2-line block ×3, first 2 shown]
	s_waitcnt vmcnt(0) lgkmcnt(0)
	s_barrier
	buffer_gl0_inv
	v_mul_f64 v[130:131], v[34:35], v[6:7]
	v_mul_f64 v[132:133], v[32:33], v[6:7]
	;; [unrolled: 1-line block ×24, first 2 shown]
	v_fma_f64 v[32:33], v[32:33], v[4:5], v[130:131]
	v_fma_f64 v[34:35], v[34:35], v[4:5], -v[132:133]
	v_fma_f64 v[36:37], v[36:37], v[0:1], v[134:135]
	v_fma_f64 v[38:39], v[38:39], v[0:1], -v[142:143]
	;; [unrolled: 2-line block ×12, first 2 shown]
	v_add_f64 v[0:1], v[24:25], -v[32:33]
	v_add_f64 v[2:3], v[26:27], -v[34:35]
	;; [unrolled: 1-line block ×24, first 2 shown]
	v_fma_f64 v[24:25], v[24:25], 2.0, -v[0:1]
	v_fma_f64 v[26:27], v[26:27], 2.0, -v[2:3]
	v_fma_f64 v[28:29], v[28:29], 2.0, -v[4:5]
	v_fma_f64 v[30:31], v[30:31], 2.0, -v[6:7]
	v_fma_f64 v[40:41], v[40:41], 2.0, -v[8:9]
	v_fma_f64 v[42:43], v[42:43], 2.0, -v[10:11]
	v_fma_f64 v[44:45], v[44:45], 2.0, -v[12:13]
	v_fma_f64 v[46:47], v[46:47], 2.0, -v[14:15]
	v_fma_f64 v[58:59], v[58:59], 2.0, -v[16:17]
	v_fma_f64 v[60:61], v[60:61], 2.0, -v[18:19]
	v_fma_f64 v[62:63], v[62:63], 2.0, -v[20:21]
	v_fma_f64 v[64:65], v[64:65], 2.0, -v[22:23]
	v_fma_f64 v[74:75], v[74:75], 2.0, -v[32:33]
	v_fma_f64 v[76:77], v[76:77], 2.0, -v[34:35]
	v_fma_f64 v[78:79], v[78:79], 2.0, -v[36:37]
	v_fma_f64 v[80:81], v[80:81], 2.0, -v[38:39]
	v_fma_f64 v[82:83], v[90:91], 2.0, -v[50:51]
	v_fma_f64 v[84:85], v[92:93], 2.0, -v[52:53]
	v_fma_f64 v[86:87], v[94:95], 2.0, -v[54:55]
	v_fma_f64 v[88:89], v[96:97], 2.0, -v[56:57]
	v_fma_f64 v[90:91], v[106:107], 2.0, -v[66:67]
	v_fma_f64 v[92:93], v[108:109], 2.0, -v[68:69]
	v_fma_f64 v[94:95], v[110:111], 2.0, -v[70:71]
	v_fma_f64 v[96:97], v[112:113], 2.0, -v[72:73]
	ds_write_b128 v179, v[0:3] offset:4992
	ds_write_b128 v179, v[4:7] offset:5824
	;; [unrolled: 1-line block ×12, first 2 shown]
	ds_write_b128 v179, v[24:27]
	ds_write_b128 v179, v[28:31] offset:832
	ds_write_b128 v179, v[40:43] offset:1664
	;; [unrolled: 1-line block ×11, first 2 shown]
	v_add_co_u32 v40, s0, 0x4000, v48
	s_waitcnt lgkmcnt(0)
	s_barrier
	buffer_gl0_inv
	s_clause 0x3
	global_load_dwordx4 v[0:3], v[122:123], off offset:1760
	global_load_dwordx4 v[4:7], v[124:125], off offset:544
	;; [unrolled: 1-line block ×4, first 2 shown]
	v_add_co_ci_u32_e64 v41, s0, 0, v49, s0
	v_add_co_u32 v44, s0, 0x4800, v48
	v_add_co_ci_u32_e64 v45, s0, 0, v49, s0
	s_clause 0x7
	global_load_dwordx4 v[16:19], v[126:127], off offset:992
	global_load_dwordx4 v[20:23], v[126:127], off offset:1824
	;; [unrolled: 1-line block ×8, first 2 shown]
	ds_read_b128 v[48:51], v179
	ds_read_b128 v[52:55], v179 offset:832
	ds_read_b128 v[56:59], v179 offset:9984
	ds_read_b128 v[60:63], v179 offset:10816
	ds_read_b128 v[64:67], v179 offset:1664
	ds_read_b128 v[68:71], v179 offset:2496
	ds_read_b128 v[72:75], v179 offset:11648
	ds_read_b128 v[76:79], v179 offset:12480
	ds_read_b128 v[80:83], v179 offset:3328
	ds_read_b128 v[84:87], v179 offset:4160
	ds_read_b128 v[88:91], v179 offset:13312
	ds_read_b128 v[92:95], v179 offset:14144
	ds_read_b128 v[96:99], v179 offset:4992
	ds_read_b128 v[100:103], v179 offset:5824
	ds_read_b128 v[104:107], v179 offset:14976
	ds_read_b128 v[108:111], v179 offset:15808
	ds_read_b128 v[112:115], v179 offset:6656
	ds_read_b128 v[116:119], v179 offset:7488
	ds_read_b128 v[120:123], v179 offset:16640
	ds_read_b128 v[124:127], v179 offset:17472
	ds_read_b128 v[128:131], v179 offset:8320
	ds_read_b128 v[132:135], v179 offset:9152
	ds_read_b128 v[142:145], v179 offset:18304
	ds_read_b128 v[146:149], v179 offset:19136
	s_waitcnt vmcnt(0) lgkmcnt(0)
	s_barrier
	buffer_gl0_inv
	v_mul_f64 v[150:151], v[58:59], v[2:3]
	v_mul_f64 v[2:3], v[56:57], v[2:3]
	;; [unrolled: 1-line block ×24, first 2 shown]
	v_fma_f64 v[56:57], v[56:57], v[0:1], v[150:151]
	v_fma_f64 v[2:3], v[58:59], v[0:1], -v[2:3]
	v_fma_f64 v[58:59], v[60:61], v[4:5], v[152:153]
	v_fma_f64 v[6:7], v[62:63], v[4:5], -v[6:7]
	;; [unrolled: 2-line block ×12, first 2 shown]
	v_add_f64 v[0:1], v[48:49], -v[56:57]
	v_add_f64 v[2:3], v[50:51], -v[2:3]
	;; [unrolled: 1-line block ×24, first 2 shown]
	v_fma_f64 v[48:49], v[48:49], 2.0, -v[0:1]
	v_fma_f64 v[50:51], v[50:51], 2.0, -v[2:3]
	;; [unrolled: 1-line block ×24, first 2 shown]
	ds_write_b128 v179, v[0:3] offset:9984
	ds_write_b128 v179, v[4:7] offset:10816
	;; [unrolled: 1-line block ×12, first 2 shown]
	ds_write_b128 v179, v[48:51]
	ds_write_b128 v179, v[52:55] offset:832
	ds_write_b128 v179, v[56:59] offset:1664
	ds_write_b128 v179, v[60:63] offset:2496
	ds_write_b128 v179, v[64:67] offset:3328
	ds_write_b128 v179, v[68:71] offset:4160
	ds_write_b128 v179, v[72:75] offset:4992
	ds_write_b128 v179, v[76:79] offset:5824
	ds_write_b128 v179, v[80:83] offset:6656
	ds_write_b128 v179, v[84:87] offset:7488
	ds_write_b128 v179, v[88:91] offset:8320
	ds_write_b128 v179, v[92:95] offset:9152
	s_waitcnt lgkmcnt(0)
	s_barrier
	buffer_gl0_inv
	s_and_saveexec_b32 s0, vcc_lo
	s_cbranch_execz .LBB0_23
; %bb.22:
	v_lshl_add_u32 v26, v136, 4, 0
	v_mov_b32_e32 v137, v141
	v_add_nc_u32_e32 v140, 52, v136
	v_add_co_u32 v30, vcc_lo, s2, v138
	ds_read_b128 v[0:3], v26
	v_lshlrev_b64 v[18:19], 4, v[136:137]
	v_lshlrev_b64 v[16:17], 4, v[140:141]
	v_add_nc_u32_e32 v140, 0x68, v136
	ds_read_b128 v[4:7], v26 offset:832
	ds_read_b128 v[8:11], v26 offset:1664
	;; [unrolled: 1-line block ×3, first 2 shown]
	v_add_co_ci_u32_e32 v31, vcc_lo, s3, v139, vcc_lo
	v_add_co_u32 v18, vcc_lo, v30, v18
	v_lshlrev_b64 v[20:21], 4, v[140:141]
	v_add_nc_u32_e32 v140, 0x9c, v136
	v_add_co_ci_u32_e32 v19, vcc_lo, v31, v19, vcc_lo
	v_add_co_u32 v16, vcc_lo, v30, v16
	v_lshlrev_b64 v[22:23], 4, v[140:141]
	v_add_co_ci_u32_e32 v17, vcc_lo, v31, v17, vcc_lo
	v_add_nc_u32_e32 v140, 0xd0, v136
	s_waitcnt lgkmcnt(3)
	global_store_dwordx4 v[18:19], v[0:3], off
	v_add_co_u32 v0, vcc_lo, v30, v20
	v_add_co_ci_u32_e32 v1, vcc_lo, v31, v21, vcc_lo
	v_add_co_u32 v2, vcc_lo, v30, v22
	v_add_co_ci_u32_e32 v3, vcc_lo, v31, v23, vcc_lo
	s_waitcnt lgkmcnt(2)
	global_store_dwordx4 v[16:17], v[4:7], off
	v_lshlrev_b64 v[16:17], 4, v[140:141]
	v_add_nc_u32_e32 v140, 0x104, v136
	s_waitcnt lgkmcnt(1)
	global_store_dwordx4 v[0:1], v[8:11], off
	s_waitcnt lgkmcnt(0)
	global_store_dwordx4 v[2:3], v[12:15], off
	ds_read_b128 v[0:3], v26 offset:3328
	ds_read_b128 v[4:7], v26 offset:4160
	;; [unrolled: 1-line block ×3, first 2 shown]
	v_lshlrev_b64 v[12:13], 4, v[140:141]
	v_add_nc_u32_e32 v140, 0x138, v136
	v_add_co_u32 v14, vcc_lo, v30, v16
	v_add_co_ci_u32_e32 v15, vcc_lo, v31, v17, vcc_lo
	v_lshlrev_b64 v[16:17], 4, v[140:141]
	v_add_co_u32 v12, vcc_lo, v30, v12
	v_add_co_ci_u32_e32 v13, vcc_lo, v31, v13, vcc_lo
	v_add_nc_u32_e32 v140, 0x16c, v136
	v_add_co_u32 v16, vcc_lo, v30, v16
	v_add_co_ci_u32_e32 v17, vcc_lo, v31, v17, vcc_lo
	s_waitcnt lgkmcnt(2)
	global_store_dwordx4 v[14:15], v[0:3], off
	s_waitcnt lgkmcnt(1)
	global_store_dwordx4 v[12:13], v[4:7], off
	v_lshlrev_b64 v[18:19], 4, v[140:141]
	v_add_nc_u32_e32 v140, 0x1a0, v136
	ds_read_b128 v[0:3], v26 offset:5824
	s_waitcnt lgkmcnt(1)
	global_store_dwordx4 v[16:17], v[8:11], off
	ds_read_b128 v[4:7], v26 offset:6656
	ds_read_b128 v[8:11], v26 offset:7488
	v_lshlrev_b64 v[12:13], 4, v[140:141]
	v_add_nc_u32_e32 v140, 0x1d4, v136
	v_add_co_u32 v14, vcc_lo, v30, v18
	v_add_co_ci_u32_e32 v15, vcc_lo, v31, v19, vcc_lo
	v_lshlrev_b64 v[16:17], 4, v[140:141]
	v_add_co_u32 v12, vcc_lo, v30, v12
	v_add_co_ci_u32_e32 v13, vcc_lo, v31, v13, vcc_lo
	v_add_nc_u32_e32 v140, 0x208, v136
	v_add_co_u32 v16, vcc_lo, v30, v16
	v_add_co_ci_u32_e32 v17, vcc_lo, v31, v17, vcc_lo
	s_waitcnt lgkmcnt(2)
	global_store_dwordx4 v[14:15], v[0:3], off
	v_lshlrev_b64 v[14:15], 4, v[140:141]
	v_add_nc_u32_e32 v140, 0x23c, v136
	s_waitcnt lgkmcnt(1)
	global_store_dwordx4 v[12:13], v[4:7], off
	s_waitcnt lgkmcnt(0)
	global_store_dwordx4 v[16:17], v[8:11], off
	ds_read_b128 v[0:3], v26 offset:8320
	ds_read_b128 v[4:7], v26 offset:9152
	;; [unrolled: 1-line block ×3, first 2 shown]
	v_lshlrev_b64 v[12:13], 4, v[140:141]
	v_add_nc_u32_e32 v140, 0x270, v136
	v_add_co_u32 v14, vcc_lo, v30, v14
	v_add_co_ci_u32_e32 v15, vcc_lo, v31, v15, vcc_lo
	v_lshlrev_b64 v[16:17], 4, v[140:141]
	v_add_co_u32 v12, vcc_lo, v30, v12
	v_add_co_ci_u32_e32 v13, vcc_lo, v31, v13, vcc_lo
	v_add_nc_u32_e32 v140, 0x2a4, v136
	v_add_co_u32 v16, vcc_lo, v30, v16
	v_add_co_ci_u32_e32 v17, vcc_lo, v31, v17, vcc_lo
	v_lshlrev_b64 v[18:19], 4, v[140:141]
	v_add_nc_u32_e32 v140, 0x2d8, v136
	s_waitcnt lgkmcnt(2)
	global_store_dwordx4 v[14:15], v[0:3], off
	s_waitcnt lgkmcnt(1)
	global_store_dwordx4 v[12:13], v[4:7], off
	;; [unrolled: 2-line block ×3, first 2 shown]
	ds_read_b128 v[0:3], v26 offset:10816
	ds_read_b128 v[4:7], v26 offset:11648
	;; [unrolled: 1-line block ×3, first 2 shown]
	v_lshlrev_b64 v[12:13], 4, v[140:141]
	v_add_nc_u32_e32 v140, 0x30c, v136
	v_add_co_u32 v14, vcc_lo, v30, v18
	v_add_co_ci_u32_e32 v15, vcc_lo, v31, v19, vcc_lo
	v_lshlrev_b64 v[16:17], 4, v[140:141]
	v_add_co_u32 v12, vcc_lo, v30, v12
	v_add_co_ci_u32_e32 v13, vcc_lo, v31, v13, vcc_lo
	v_add_nc_u32_e32 v140, 0x340, v136
	v_add_co_u32 v16, vcc_lo, v30, v16
	v_add_co_ci_u32_e32 v17, vcc_lo, v31, v17, vcc_lo
	s_waitcnt lgkmcnt(2)
	global_store_dwordx4 v[14:15], v[0:3], off
	s_waitcnt lgkmcnt(1)
	global_store_dwordx4 v[12:13], v[4:7], off
	;; [unrolled: 2-line block ×3, first 2 shown]
	v_lshlrev_b64 v[14:15], 4, v[140:141]
	v_add_nc_u32_e32 v140, 0x374, v136
	ds_read_b128 v[0:3], v26 offset:13312
	ds_read_b128 v[4:7], v26 offset:14144
	;; [unrolled: 1-line block ×3, first 2 shown]
	v_lshlrev_b64 v[12:13], 4, v[140:141]
	v_add_nc_u32_e32 v140, 0x3a8, v136
	v_add_co_u32 v14, vcc_lo, v30, v14
	v_add_co_ci_u32_e32 v15, vcc_lo, v31, v15, vcc_lo
	v_lshlrev_b64 v[16:17], 4, v[140:141]
	v_add_nc_u32_e32 v140, 0x3dc, v136
	v_add_co_u32 v12, vcc_lo, v30, v12
	v_add_co_ci_u32_e32 v13, vcc_lo, v31, v13, vcc_lo
	v_lshlrev_b64 v[18:19], 4, v[140:141]
	v_add_nc_u32_e32 v140, 0x410, v136
	v_add_co_u32 v16, vcc_lo, v30, v16
	s_waitcnt lgkmcnt(2)
	global_store_dwordx4 v[14:15], v[0:3], off
	s_waitcnt lgkmcnt(1)
	global_store_dwordx4 v[12:13], v[4:7], off
	v_add_co_ci_u32_e32 v17, vcc_lo, v31, v17, vcc_lo
	v_lshlrev_b64 v[4:5], 4, v[140:141]
	v_add_co_u32 v20, vcc_lo, v30, v18
	v_add_nc_u32_e32 v140, 0x444, v136
	v_add_co_ci_u32_e32 v21, vcc_lo, v31, v19, vcc_lo
	v_add_co_u32 v22, vcc_lo, v30, v4
	s_waitcnt lgkmcnt(0)
	global_store_dwordx4 v[16:17], v[8:11], off
	ds_read_b128 v[0:3], v26 offset:15808
	v_add_co_ci_u32_e32 v23, vcc_lo, v31, v5, vcc_lo
	ds_read_b128 v[4:7], v26 offset:16640
	ds_read_b128 v[8:11], v26 offset:17472
	ds_read_b128 v[12:15], v26 offset:18304
	ds_read_b128 v[16:19], v26 offset:19136
	v_lshlrev_b64 v[24:25], 4, v[140:141]
	v_add_nc_u32_e32 v140, 0x478, v136
	v_lshlrev_b64 v[26:27], 4, v[140:141]
	v_add_nc_u32_e32 v140, 0x4ac, v136
	v_add_co_u32 v24, vcc_lo, v30, v24
	v_add_co_ci_u32_e32 v25, vcc_lo, v31, v25, vcc_lo
	v_lshlrev_b64 v[28:29], 4, v[140:141]
	v_add_co_u32 v26, vcc_lo, v30, v26
	v_add_co_ci_u32_e32 v27, vcc_lo, v31, v27, vcc_lo
	v_add_co_u32 v28, vcc_lo, v30, v28
	v_add_co_ci_u32_e32 v29, vcc_lo, v31, v29, vcc_lo
	s_waitcnt lgkmcnt(4)
	global_store_dwordx4 v[20:21], v[0:3], off
	s_waitcnt lgkmcnt(3)
	global_store_dwordx4 v[22:23], v[4:7], off
	;; [unrolled: 2-line block ×5, first 2 shown]
.LBB0_23:
	s_endpgm
	.section	.rodata,"a",@progbits
	.p2align	6, 0x0
	.amdhsa_kernel fft_rtc_back_len1248_factors_2_2_13_2_3_2_2_wgs_52_tpt_52_halfLds_dp_ip_CI_unitstride_sbrr_C2R_dirReg
		.amdhsa_group_segment_fixed_size 0
		.amdhsa_private_segment_fixed_size 0
		.amdhsa_kernarg_size 88
		.amdhsa_user_sgpr_count 6
		.amdhsa_user_sgpr_private_segment_buffer 1
		.amdhsa_user_sgpr_dispatch_ptr 0
		.amdhsa_user_sgpr_queue_ptr 0
		.amdhsa_user_sgpr_kernarg_segment_ptr 1
		.amdhsa_user_sgpr_dispatch_id 0
		.amdhsa_user_sgpr_flat_scratch_init 0
		.amdhsa_user_sgpr_private_segment_size 0
		.amdhsa_wavefront_size32 1
		.amdhsa_uses_dynamic_stack 0
		.amdhsa_system_sgpr_private_segment_wavefront_offset 0
		.amdhsa_system_sgpr_workgroup_id_x 1
		.amdhsa_system_sgpr_workgroup_id_y 0
		.amdhsa_system_sgpr_workgroup_id_z 0
		.amdhsa_system_sgpr_workgroup_info 0
		.amdhsa_system_vgpr_workitem_id 0
		.amdhsa_next_free_vgpr 222
		.amdhsa_next_free_sgpr 44
		.amdhsa_reserve_vcc 1
		.amdhsa_reserve_flat_scratch 0
		.amdhsa_float_round_mode_32 0
		.amdhsa_float_round_mode_16_64 0
		.amdhsa_float_denorm_mode_32 3
		.amdhsa_float_denorm_mode_16_64 3
		.amdhsa_dx10_clamp 1
		.amdhsa_ieee_mode 1
		.amdhsa_fp16_overflow 0
		.amdhsa_workgroup_processor_mode 1
		.amdhsa_memory_ordered 1
		.amdhsa_forward_progress 0
		.amdhsa_shared_vgpr_count 0
		.amdhsa_exception_fp_ieee_invalid_op 0
		.amdhsa_exception_fp_denorm_src 0
		.amdhsa_exception_fp_ieee_div_zero 0
		.amdhsa_exception_fp_ieee_overflow 0
		.amdhsa_exception_fp_ieee_underflow 0
		.amdhsa_exception_fp_ieee_inexact 0
		.amdhsa_exception_int_div_zero 0
	.end_amdhsa_kernel
	.text
.Lfunc_end0:
	.size	fft_rtc_back_len1248_factors_2_2_13_2_3_2_2_wgs_52_tpt_52_halfLds_dp_ip_CI_unitstride_sbrr_C2R_dirReg, .Lfunc_end0-fft_rtc_back_len1248_factors_2_2_13_2_3_2_2_wgs_52_tpt_52_halfLds_dp_ip_CI_unitstride_sbrr_C2R_dirReg
                                        ; -- End function
	.section	.AMDGPU.csdata,"",@progbits
; Kernel info:
; codeLenInByte = 22648
; NumSgprs: 46
; NumVgprs: 222
; ScratchSize: 0
; MemoryBound: 0
; FloatMode: 240
; IeeeMode: 1
; LDSByteSize: 0 bytes/workgroup (compile time only)
; SGPRBlocks: 5
; VGPRBlocks: 27
; NumSGPRsForWavesPerEU: 46
; NumVGPRsForWavesPerEU: 222
; Occupancy: 4
; WaveLimiterHint : 1
; COMPUTE_PGM_RSRC2:SCRATCH_EN: 0
; COMPUTE_PGM_RSRC2:USER_SGPR: 6
; COMPUTE_PGM_RSRC2:TRAP_HANDLER: 0
; COMPUTE_PGM_RSRC2:TGID_X_EN: 1
; COMPUTE_PGM_RSRC2:TGID_Y_EN: 0
; COMPUTE_PGM_RSRC2:TGID_Z_EN: 0
; COMPUTE_PGM_RSRC2:TIDIG_COMP_CNT: 0
	.text
	.p2alignl 6, 3214868480
	.fill 48, 4, 3214868480
	.type	__hip_cuid_ab811e9f9fe0d504,@object ; @__hip_cuid_ab811e9f9fe0d504
	.section	.bss,"aw",@nobits
	.globl	__hip_cuid_ab811e9f9fe0d504
__hip_cuid_ab811e9f9fe0d504:
	.byte	0                               ; 0x0
	.size	__hip_cuid_ab811e9f9fe0d504, 1

	.ident	"AMD clang version 19.0.0git (https://github.com/RadeonOpenCompute/llvm-project roc-6.4.0 25133 c7fe45cf4b819c5991fe208aaa96edf142730f1d)"
	.section	".note.GNU-stack","",@progbits
	.addrsig
	.addrsig_sym __hip_cuid_ab811e9f9fe0d504
	.amdgpu_metadata
---
amdhsa.kernels:
  - .args:
      - .actual_access:  read_only
        .address_space:  global
        .offset:         0
        .size:           8
        .value_kind:     global_buffer
      - .offset:         8
        .size:           8
        .value_kind:     by_value
      - .actual_access:  read_only
        .address_space:  global
        .offset:         16
        .size:           8
        .value_kind:     global_buffer
      - .actual_access:  read_only
        .address_space:  global
        .offset:         24
        .size:           8
        .value_kind:     global_buffer
      - .offset:         32
        .size:           8
        .value_kind:     by_value
      - .actual_access:  read_only
        .address_space:  global
        .offset:         40
        .size:           8
        .value_kind:     global_buffer
      - .actual_access:  read_only
        .address_space:  global
        .offset:         48
        .size:           8
        .value_kind:     global_buffer
      - .offset:         56
        .size:           4
        .value_kind:     by_value
      - .actual_access:  read_only
        .address_space:  global
        .offset:         64
        .size:           8
        .value_kind:     global_buffer
      - .actual_access:  read_only
        .address_space:  global
        .offset:         72
        .size:           8
        .value_kind:     global_buffer
      - .address_space:  global
        .offset:         80
        .size:           8
        .value_kind:     global_buffer
    .group_segment_fixed_size: 0
    .kernarg_segment_align: 8
    .kernarg_segment_size: 88
    .language:       OpenCL C
    .language_version:
      - 2
      - 0
    .max_flat_workgroup_size: 52
    .name:           fft_rtc_back_len1248_factors_2_2_13_2_3_2_2_wgs_52_tpt_52_halfLds_dp_ip_CI_unitstride_sbrr_C2R_dirReg
    .private_segment_fixed_size: 0
    .sgpr_count:     46
    .sgpr_spill_count: 0
    .symbol:         fft_rtc_back_len1248_factors_2_2_13_2_3_2_2_wgs_52_tpt_52_halfLds_dp_ip_CI_unitstride_sbrr_C2R_dirReg.kd
    .uniform_work_group_size: 1
    .uses_dynamic_stack: false
    .vgpr_count:     222
    .vgpr_spill_count: 0
    .wavefront_size: 32
    .workgroup_processor_mode: 1
amdhsa.target:   amdgcn-amd-amdhsa--gfx1030
amdhsa.version:
  - 1
  - 2
...

	.end_amdgpu_metadata
